;; amdgpu-corpus repo=ROCm/rocFFT kind=compiled arch=gfx906 opt=O3
	.text
	.amdgcn_target "amdgcn-amd-amdhsa--gfx906"
	.amdhsa_code_object_version 6
	.protected	fft_rtc_fwd_len1400_factors_2_2_2_5_7_5_wgs_56_tpt_56_halfLds_half_ip_CI_unitstride_sbrr_C2R_dirReg ; -- Begin function fft_rtc_fwd_len1400_factors_2_2_2_5_7_5_wgs_56_tpt_56_halfLds_half_ip_CI_unitstride_sbrr_C2R_dirReg
	.globl	fft_rtc_fwd_len1400_factors_2_2_2_5_7_5_wgs_56_tpt_56_halfLds_half_ip_CI_unitstride_sbrr_C2R_dirReg
	.p2align	8
	.type	fft_rtc_fwd_len1400_factors_2_2_2_5_7_5_wgs_56_tpt_56_halfLds_half_ip_CI_unitstride_sbrr_C2R_dirReg,@function
fft_rtc_fwd_len1400_factors_2_2_2_5_7_5_wgs_56_tpt_56_halfLds_half_ip_CI_unitstride_sbrr_C2R_dirReg: ; @fft_rtc_fwd_len1400_factors_2_2_2_5_7_5_wgs_56_tpt_56_halfLds_half_ip_CI_unitstride_sbrr_C2R_dirReg
; %bb.0:
	s_load_dwordx2 s[12:13], s[4:5], 0x50
	s_load_dwordx4 s[8:11], s[4:5], 0x0
	s_load_dwordx2 s[2:3], s[4:5], 0x18
	v_mul_u32_u24_e32 v1, 0x493, v0
	v_add_u32_sdwa v5, s6, v1 dst_sel:DWORD dst_unused:UNUSED_PAD src0_sel:DWORD src1_sel:WORD_1
	v_mov_b32_e32 v3, 0
	s_waitcnt lgkmcnt(0)
	v_cmp_lt_u64_e64 s[0:1], s[10:11], 2
	v_mov_b32_e32 v1, 0
	v_mov_b32_e32 v6, v3
	s_and_b64 vcc, exec, s[0:1]
	v_mov_b32_e32 v2, 0
	s_cbranch_vccnz .LBB0_8
; %bb.1:
	s_load_dwordx2 s[0:1], s[4:5], 0x10
	s_add_u32 s6, s2, 8
	s_addc_u32 s7, s3, 0
	v_mov_b32_e32 v1, 0
	v_mov_b32_e32 v2, 0
	s_waitcnt lgkmcnt(0)
	s_add_u32 s14, s0, 8
	s_addc_u32 s15, s1, 0
	s_mov_b64 s[16:17], 1
.LBB0_2:                                ; =>This Inner Loop Header: Depth=1
	s_load_dwordx2 s[18:19], s[14:15], 0x0
                                        ; implicit-def: $vgpr7_vgpr8
	s_waitcnt lgkmcnt(0)
	v_or_b32_e32 v4, s19, v6
	v_cmp_ne_u64_e32 vcc, 0, v[3:4]
	s_and_saveexec_b64 s[0:1], vcc
	s_xor_b64 s[20:21], exec, s[0:1]
	s_cbranch_execz .LBB0_4
; %bb.3:                                ;   in Loop: Header=BB0_2 Depth=1
	v_cvt_f32_u32_e32 v4, s18
	v_cvt_f32_u32_e32 v7, s19
	s_sub_u32 s0, 0, s18
	s_subb_u32 s1, 0, s19
	v_mac_f32_e32 v4, 0x4f800000, v7
	v_rcp_f32_e32 v4, v4
	v_mul_f32_e32 v4, 0x5f7ffffc, v4
	v_mul_f32_e32 v7, 0x2f800000, v4
	v_trunc_f32_e32 v7, v7
	v_mac_f32_e32 v4, 0xcf800000, v7
	v_cvt_u32_f32_e32 v7, v7
	v_cvt_u32_f32_e32 v4, v4
	v_mul_lo_u32 v8, s0, v7
	v_mul_hi_u32 v9, s0, v4
	v_mul_lo_u32 v11, s1, v4
	v_mul_lo_u32 v10, s0, v4
	v_add_u32_e32 v8, v9, v8
	v_add_u32_e32 v8, v8, v11
	v_mul_hi_u32 v9, v4, v10
	v_mul_lo_u32 v11, v4, v8
	v_mul_hi_u32 v13, v4, v8
	v_mul_hi_u32 v12, v7, v10
	v_mul_lo_u32 v10, v7, v10
	v_mul_hi_u32 v14, v7, v8
	v_add_co_u32_e32 v9, vcc, v9, v11
	v_addc_co_u32_e32 v11, vcc, 0, v13, vcc
	v_mul_lo_u32 v8, v7, v8
	v_add_co_u32_e32 v9, vcc, v9, v10
	v_addc_co_u32_e32 v9, vcc, v11, v12, vcc
	v_addc_co_u32_e32 v10, vcc, 0, v14, vcc
	v_add_co_u32_e32 v8, vcc, v9, v8
	v_addc_co_u32_e32 v9, vcc, 0, v10, vcc
	v_add_co_u32_e32 v4, vcc, v4, v8
	v_addc_co_u32_e32 v7, vcc, v7, v9, vcc
	v_mul_lo_u32 v8, s0, v7
	v_mul_hi_u32 v9, s0, v4
	v_mul_lo_u32 v10, s1, v4
	v_mul_lo_u32 v11, s0, v4
	v_add_u32_e32 v8, v9, v8
	v_add_u32_e32 v8, v8, v10
	v_mul_lo_u32 v12, v4, v8
	v_mul_hi_u32 v13, v4, v11
	v_mul_hi_u32 v14, v4, v8
	;; [unrolled: 1-line block ×3, first 2 shown]
	v_mul_lo_u32 v11, v7, v11
	v_mul_hi_u32 v9, v7, v8
	v_add_co_u32_e32 v12, vcc, v13, v12
	v_addc_co_u32_e32 v13, vcc, 0, v14, vcc
	v_mul_lo_u32 v8, v7, v8
	v_add_co_u32_e32 v11, vcc, v12, v11
	v_addc_co_u32_e32 v10, vcc, v13, v10, vcc
	v_addc_co_u32_e32 v9, vcc, 0, v9, vcc
	v_add_co_u32_e32 v8, vcc, v10, v8
	v_addc_co_u32_e32 v9, vcc, 0, v9, vcc
	v_add_co_u32_e32 v4, vcc, v4, v8
	v_addc_co_u32_e32 v9, vcc, v7, v9, vcc
	v_mad_u64_u32 v[7:8], s[0:1], v5, v9, 0
	v_mul_hi_u32 v10, v5, v4
	v_add_co_u32_e32 v11, vcc, v10, v7
	v_addc_co_u32_e32 v12, vcc, 0, v8, vcc
	v_mad_u64_u32 v[7:8], s[0:1], v6, v4, 0
	v_mad_u64_u32 v[9:10], s[0:1], v6, v9, 0
	v_add_co_u32_e32 v4, vcc, v11, v7
	v_addc_co_u32_e32 v4, vcc, v12, v8, vcc
	v_addc_co_u32_e32 v7, vcc, 0, v10, vcc
	v_add_co_u32_e32 v4, vcc, v4, v9
	v_addc_co_u32_e32 v9, vcc, 0, v7, vcc
	v_mul_lo_u32 v10, s19, v4
	v_mul_lo_u32 v11, s18, v9
	v_mad_u64_u32 v[7:8], s[0:1], s18, v4, 0
	v_add3_u32 v8, v8, v11, v10
	v_sub_u32_e32 v10, v6, v8
	v_mov_b32_e32 v11, s19
	v_sub_co_u32_e32 v7, vcc, v5, v7
	v_subb_co_u32_e64 v10, s[0:1], v10, v11, vcc
	v_subrev_co_u32_e64 v11, s[0:1], s18, v7
	v_subbrev_co_u32_e64 v10, s[0:1], 0, v10, s[0:1]
	v_cmp_le_u32_e64 s[0:1], s19, v10
	v_cndmask_b32_e64 v12, 0, -1, s[0:1]
	v_cmp_le_u32_e64 s[0:1], s18, v11
	v_cndmask_b32_e64 v11, 0, -1, s[0:1]
	v_cmp_eq_u32_e64 s[0:1], s19, v10
	v_cndmask_b32_e64 v10, v12, v11, s[0:1]
	v_add_co_u32_e64 v11, s[0:1], 2, v4
	v_addc_co_u32_e64 v12, s[0:1], 0, v9, s[0:1]
	v_add_co_u32_e64 v13, s[0:1], 1, v4
	v_addc_co_u32_e64 v14, s[0:1], 0, v9, s[0:1]
	v_subb_co_u32_e32 v8, vcc, v6, v8, vcc
	v_cmp_ne_u32_e64 s[0:1], 0, v10
	v_cmp_le_u32_e32 vcc, s19, v8
	v_cndmask_b32_e64 v10, v14, v12, s[0:1]
	v_cndmask_b32_e64 v12, 0, -1, vcc
	v_cmp_le_u32_e32 vcc, s18, v7
	v_cndmask_b32_e64 v7, 0, -1, vcc
	v_cmp_eq_u32_e32 vcc, s19, v8
	v_cndmask_b32_e32 v7, v12, v7, vcc
	v_cmp_ne_u32_e32 vcc, 0, v7
	v_cndmask_b32_e64 v7, v13, v11, s[0:1]
	v_cndmask_b32_e32 v8, v9, v10, vcc
	v_cndmask_b32_e32 v7, v4, v7, vcc
.LBB0_4:                                ;   in Loop: Header=BB0_2 Depth=1
	s_andn2_saveexec_b64 s[0:1], s[20:21]
	s_cbranch_execz .LBB0_6
; %bb.5:                                ;   in Loop: Header=BB0_2 Depth=1
	v_cvt_f32_u32_e32 v4, s18
	s_sub_i32 s20, 0, s18
	v_rcp_iflag_f32_e32 v4, v4
	v_mul_f32_e32 v4, 0x4f7ffffe, v4
	v_cvt_u32_f32_e32 v4, v4
	v_mul_lo_u32 v7, s20, v4
	v_mul_hi_u32 v7, v4, v7
	v_add_u32_e32 v4, v4, v7
	v_mul_hi_u32 v4, v5, v4
	v_mul_lo_u32 v7, v4, s18
	v_add_u32_e32 v8, 1, v4
	v_sub_u32_e32 v7, v5, v7
	v_subrev_u32_e32 v9, s18, v7
	v_cmp_le_u32_e32 vcc, s18, v7
	v_cndmask_b32_e32 v7, v7, v9, vcc
	v_cndmask_b32_e32 v4, v4, v8, vcc
	v_add_u32_e32 v8, 1, v4
	v_cmp_le_u32_e32 vcc, s18, v7
	v_cndmask_b32_e32 v7, v4, v8, vcc
	v_mov_b32_e32 v8, v3
.LBB0_6:                                ;   in Loop: Header=BB0_2 Depth=1
	s_or_b64 exec, exec, s[0:1]
	v_mul_lo_u32 v4, v8, s18
	v_mul_lo_u32 v11, v7, s19
	v_mad_u64_u32 v[9:10], s[0:1], v7, s18, 0
	s_load_dwordx2 s[0:1], s[6:7], 0x0
	s_add_u32 s16, s16, 1
	v_add3_u32 v4, v10, v11, v4
	v_sub_co_u32_e32 v5, vcc, v5, v9
	v_subb_co_u32_e32 v4, vcc, v6, v4, vcc
	s_waitcnt lgkmcnt(0)
	v_mul_lo_u32 v4, s0, v4
	v_mul_lo_u32 v6, s1, v5
	v_mad_u64_u32 v[1:2], s[0:1], s0, v5, v[1:2]
	s_addc_u32 s17, s17, 0
	s_add_u32 s6, s6, 8
	v_add3_u32 v2, v6, v2, v4
	v_mov_b32_e32 v4, s10
	v_mov_b32_e32 v5, s11
	s_addc_u32 s7, s7, 0
	v_cmp_ge_u64_e32 vcc, s[16:17], v[4:5]
	s_add_u32 s14, s14, 8
	s_addc_u32 s15, s15, 0
	s_cbranch_vccnz .LBB0_9
; %bb.7:                                ;   in Loop: Header=BB0_2 Depth=1
	v_mov_b32_e32 v5, v7
	v_mov_b32_e32 v6, v8
	s_branch .LBB0_2
.LBB0_8:
	v_mov_b32_e32 v8, v6
	v_mov_b32_e32 v7, v5
.LBB0_9:
	s_lshl_b64 s[0:1], s[10:11], 3
	s_add_u32 s0, s2, s0
	s_addc_u32 s1, s3, s1
	s_load_dwordx2 s[2:3], s[0:1], 0x0
	s_load_dwordx2 s[6:7], s[4:5], 0x20
	s_waitcnt lgkmcnt(0)
	v_mad_u64_u32 v[1:2], s[0:1], s2, v7, v[1:2]
	v_mul_lo_u32 v3, s2, v8
	v_mul_lo_u32 v4, s3, v7
	s_mov_b32 s0, 0x4924925
	v_mul_hi_u32 v5, v0, s0
	v_cmp_gt_u64_e64 s[0:1], s[6:7], v[7:8]
	v_add3_u32 v2, v4, v2, v3
	v_lshlrev_b64 v[2:3], 2, v[1:2]
	v_mul_u32_u24_e32 v4, 56, v5
	v_sub_u32_e32 v0, v0, v4
	s_and_saveexec_b64 s[2:3], s[0:1]
	s_cbranch_execz .LBB0_13
; %bb.10:
	v_mov_b32_e32 v1, 0
	v_mov_b32_e32 v4, s13
	v_add_co_u32_e32 v5, vcc, s12, v2
	v_lshlrev_b64 v[6:7], 2, v[0:1]
	v_addc_co_u32_e32 v4, vcc, v4, v3, vcc
	v_or_b32_e32 v8, 0x540, v0
	v_mov_b32_e32 v9, v1
	v_add_co_u32_e32 v6, vcc, v5, v6
	v_lshlrev_b64 v[8:9], 2, v[8:9]
	v_addc_co_u32_e32 v7, vcc, v4, v7, vcc
	v_add_co_u32_e32 v8, vcc, v5, v8
	v_addc_co_u32_e32 v9, vcc, v4, v9, vcc
	s_movk_i32 s4, 0x1000
	v_add_co_u32_e32 v10, vcc, s4, v6
	global_load_dword v12, v[6:7], off offset:1120
	global_load_dword v13, v[6:7], off offset:1344
	;; [unrolled: 1-line block ×11, first 2 shown]
	global_load_dword v23, v[6:7], off
	global_load_dword v24, v[6:7], off offset:224
	global_load_dword v25, v[6:7], off offset:448
	;; [unrolled: 1-line block ×4, first 2 shown]
	v_addc_co_u32_e32 v11, vcc, 0, v7, vcc
	global_load_dword v28, v[6:7], off offset:3584
	global_load_dword v29, v[6:7], off offset:3808
	;; [unrolled: 1-line block ×8, first 2 shown]
	global_load_dword v36, v[8:9], off
	v_lshl_add_u32 v6, v0, 2, 0
	v_add_u32_e32 v7, 0x200, v6
	v_cmp_eq_u32_e32 vcc, 55, v0
	v_add_u32_e32 v8, 0x400, v6
	v_add_u32_e32 v9, 0x800, v6
	;; [unrolled: 1-line block ×6, first 2 shown]
	s_waitcnt vmcnt(10)
	ds_write2_b32 v7, v26, v12 offset0:96 offset1:152
	ds_write2_b32 v8, v13, v14 offset0:80 offset1:136
	;; [unrolled: 1-line block ×3, first 2 shown]
	ds_write2_b32 v6, v23, v24 offset1:56
	ds_write2_b32 v9, v17, v18 offset0:48 offset1:104
	ds_write2_b32 v9, v19, v20 offset0:160 offset1:216
	s_waitcnt vmcnt(9)
	ds_write2_b32 v6, v25, v27 offset0:112 offset1:168
	ds_write2_b32 v10, v21, v22 offset0:16 offset1:72
	s_waitcnt vmcnt(7)
	ds_write2_b32 v10, v28, v29 offset0:128 offset1:184
	s_waitcnt vmcnt(5)
	;; [unrolled: 2-line block ×5, first 2 shown]
	ds_write_b32 v6, v36 offset:5376
	s_and_saveexec_b64 s[4:5], vcc
	s_cbranch_execz .LBB0_12
; %bb.11:
	v_add_co_u32_e32 v5, vcc, 0x1000, v5
	v_addc_co_u32_e32 v6, vcc, 0, v4, vcc
	global_load_dword v0, v[5:6], off offset:1504
	s_waitcnt vmcnt(0)
	ds_write_b32 v1, v0 offset:5600
	v_mov_b32_e32 v0, 55
.LBB0_12:
	s_or_b64 exec, exec, s[4:5]
.LBB0_13:
	s_or_b64 exec, exec, s[2:3]
	v_lshlrev_b32_e32 v4, 2, v0
	v_add_u32_e32 v33, 0, v4
	s_waitcnt lgkmcnt(0)
	; wave barrier
	s_waitcnt lgkmcnt(0)
	v_sub_u32_e32 v7, 0, v4
	ds_read_u16 v10, v33
	ds_read_u16 v11, v7 offset:5600
	s_add_u32 s4, s8, 0x15d8
	s_addc_u32 s5, s9, 0
	v_cmp_ne_u32_e32 vcc, 0, v0
                                        ; implicit-def: $vgpr5_vgpr6
	s_waitcnt lgkmcnt(0)
	v_add_f16_e32 v8, v11, v10
	v_sub_f16_e32 v9, v10, v11
	s_and_saveexec_b64 s[2:3], vcc
	s_xor_b64 s[2:3], exec, s[2:3]
	s_cbranch_execz .LBB0_15
; %bb.14:
	v_mov_b32_e32 v1, 0
	v_lshlrev_b64 v[5:6], 2, v[0:1]
	v_mov_b32_e32 v8, s5
	v_add_co_u32_e32 v5, vcc, s4, v5
	v_addc_co_u32_e32 v6, vcc, v8, v6, vcc
	global_load_dword v5, v[5:6], off
	ds_read_u16 v6, v7 offset:5602
	ds_read_u16 v8, v33 offset:2
	v_add_f16_e32 v9, v11, v10
	v_sub_f16_e32 v10, v10, v11
	s_waitcnt lgkmcnt(0)
	v_add_f16_e32 v11, v6, v8
	v_sub_f16_e32 v6, v8, v6
	s_waitcnt vmcnt(0)
	v_lshrrev_b32_e32 v8, 16, v5
	v_fma_f16 v12, v10, v8, v9
	v_fma_f16 v13, v11, v8, v6
	v_fma_f16 v14, -v10, v8, v9
	v_fma_f16 v6, v11, v8, -v6
	v_fma_f16 v8, -v5, v11, v12
	v_fma_f16 v9, v10, v5, v13
	v_fma_f16 v11, v5, v11, v14
	;; [unrolled: 1-line block ×3, first 2 shown]
	v_pack_b32_f16 v5, v11, v5
	ds_write_b32 v7, v5 offset:5600
	v_mov_b32_e32 v6, v1
	v_mov_b32_e32 v5, v0
.LBB0_15:
	s_andn2_saveexec_b64 s[2:3], s[2:3]
	s_cbranch_execz .LBB0_17
; %bb.16:
	v_mov_b32_e32 v1, 0
	ds_read_b32 v5, v1 offset:2800
	s_mov_b32 s6, 0xc0004000
	s_waitcnt lgkmcnt(0)
	v_pk_mul_f16 v10, v5, s6
	v_mov_b32_e32 v5, 0
	v_mov_b32_e32 v6, 0
	ds_write_b32 v1, v10 offset:2800
.LBB0_17:
	s_or_b64 exec, exec, s[2:3]
	v_lshlrev_b64 v[5:6], 2, v[5:6]
	v_mov_b32_e32 v1, s5
	v_add_co_u32_e32 v5, vcc, s4, v5
	v_addc_co_u32_e32 v6, vcc, v1, v6, vcc
	global_load_dword v1, v[5:6], off offset:224
	global_load_dword v10, v[5:6], off offset:448
	;; [unrolled: 1-line block ×4, first 2 shown]
	s_mov_b32 s2, 0x5040100
	v_perm_b32 v8, v9, v8, s2
	ds_write_b32 v33, v8
	ds_read_b32 v8, v33 offset:224
	ds_read_b32 v9, v7 offset:5376
	global_load_dword v13, v[5:6], off offset:1120
	global_load_dword v14, v[5:6], off offset:1344
	;; [unrolled: 1-line block ×4, first 2 shown]
	v_cmp_gt_u32_e32 vcc, 28, v0
	s_waitcnt lgkmcnt(0)
	v_add_f16_e32 v17, v8, v9
	v_add_f16_sdwa v18, v9, v8 dst_sel:DWORD dst_unused:UNUSED_PAD src0_sel:WORD_1 src1_sel:WORD_1
	v_sub_f16_e32 v19, v8, v9
	v_sub_f16_sdwa v8, v8, v9 dst_sel:DWORD dst_unused:UNUSED_PAD src0_sel:WORD_1 src1_sel:WORD_1
	s_waitcnt vmcnt(7)
	v_lshrrev_b32_e32 v9, 16, v1
	v_fma_f16 v20, v19, v9, v17
	v_fma_f16 v21, v18, v9, v8
	v_fma_f16 v17, -v19, v9, v17
	v_fma_f16 v8, v18, v9, -v8
	v_fma_f16 v9, -v1, v18, v20
	v_fma_f16 v20, v19, v1, v21
	v_fma_f16 v17, v1, v18, v17
	v_fma_f16 v1, v19, v1, v8
	v_pack_b32_f16 v8, v9, v20
	v_pack_b32_f16 v1, v17, v1
	ds_write_b32 v33, v8 offset:224
	ds_write_b32 v7, v1 offset:5376
	ds_read_b32 v1, v33 offset:448
	ds_read_b32 v8, v7 offset:5152
	s_waitcnt vmcnt(6)
	v_lshrrev_b32_e32 v9, 16, v10
	s_waitcnt lgkmcnt(0)
	v_add_f16_e32 v17, v1, v8
	v_add_f16_sdwa v18, v8, v1 dst_sel:DWORD dst_unused:UNUSED_PAD src0_sel:WORD_1 src1_sel:WORD_1
	v_sub_f16_e32 v19, v1, v8
	v_sub_f16_sdwa v1, v1, v8 dst_sel:DWORD dst_unused:UNUSED_PAD src0_sel:WORD_1 src1_sel:WORD_1
	v_fma_f16 v8, v19, v9, v17
	v_fma_f16 v20, v18, v9, v1
	v_fma_f16 v17, -v19, v9, v17
	v_fma_f16 v1, v18, v9, -v1
	v_fma_f16 v8, -v10, v18, v8
	v_fma_f16 v9, v19, v10, v20
	v_fma_f16 v17, v10, v18, v17
	v_fma_f16 v1, v19, v10, v1
	v_pack_b32_f16 v8, v8, v9
	v_pack_b32_f16 v1, v17, v1
	ds_write_b32 v33, v8 offset:448
	ds_write_b32 v7, v1 offset:5152
	ds_read_b32 v1, v33 offset:672
	ds_read_b32 v8, v7 offset:4928
	s_waitcnt vmcnt(5)
	v_lshrrev_b32_e32 v9, 16, v11
	s_waitcnt lgkmcnt(0)
	v_add_f16_e32 v10, v1, v8
	v_add_f16_sdwa v17, v8, v1 dst_sel:DWORD dst_unused:UNUSED_PAD src0_sel:WORD_1 src1_sel:WORD_1
	v_sub_f16_e32 v18, v1, v8
	v_sub_f16_sdwa v1, v1, v8 dst_sel:DWORD dst_unused:UNUSED_PAD src0_sel:WORD_1 src1_sel:WORD_1
	;; [unrolled: 21-line block ×3, first 2 shown]
	v_fma_f16 v8, v17, v9, v10
	v_fma_f16 v18, v11, v9, v1
	v_fma_f16 v10, -v17, v9, v10
	v_fma_f16 v1, v11, v9, -v1
	v_fma_f16 v8, -v12, v11, v8
	v_fma_f16 v9, v17, v12, v18
	v_fma_f16 v10, v12, v11, v10
	;; [unrolled: 1-line block ×3, first 2 shown]
	v_pack_b32_f16 v8, v8, v9
	v_pack_b32_f16 v1, v10, v1
	ds_write_b32 v33, v8 offset:896
	ds_write_b32 v7, v1 offset:4704
	ds_read_b32 v1, v33 offset:1120
	ds_read_b32 v8, v7 offset:4480
	s_waitcnt vmcnt(3)
	v_lshrrev_b32_e32 v10, 16, v13
	global_load_dword v9, v[5:6], off offset:2016
	s_waitcnt lgkmcnt(0)
	v_add_f16_e32 v11, v1, v8
	v_add_f16_sdwa v12, v8, v1 dst_sel:DWORD dst_unused:UNUSED_PAD src0_sel:WORD_1 src1_sel:WORD_1
	v_sub_f16_e32 v17, v1, v8
	v_sub_f16_sdwa v1, v1, v8 dst_sel:DWORD dst_unused:UNUSED_PAD src0_sel:WORD_1 src1_sel:WORD_1
	v_fma_f16 v8, v17, v10, v11
	v_fma_f16 v18, v12, v10, v1
	v_fma_f16 v11, -v17, v10, v11
	v_fma_f16 v1, v12, v10, -v1
	v_fma_f16 v8, -v13, v12, v8
	v_fma_f16 v10, v17, v13, v18
	v_fma_f16 v11, v13, v12, v11
	;; [unrolled: 1-line block ×3, first 2 shown]
	v_pack_b32_f16 v8, v8, v10
	v_pack_b32_f16 v1, v11, v1
	ds_write_b32 v33, v8 offset:1120
	ds_write_b32 v7, v1 offset:4480
	ds_read_b32 v1, v33 offset:1344
	ds_read_b32 v8, v7 offset:4256
	s_waitcnt vmcnt(3)
	v_lshrrev_b32_e32 v11, 16, v14
	global_load_dword v10, v[5:6], off offset:2240
	s_waitcnt lgkmcnt(0)
	v_add_f16_e32 v12, v1, v8
	v_add_f16_sdwa v13, v8, v1 dst_sel:DWORD dst_unused:UNUSED_PAD src0_sel:WORD_1 src1_sel:WORD_1
	v_sub_f16_e32 v17, v1, v8
	v_sub_f16_sdwa v1, v1, v8 dst_sel:DWORD dst_unused:UNUSED_PAD src0_sel:WORD_1 src1_sel:WORD_1
	v_fma_f16 v8, v17, v11, v12
	v_fma_f16 v18, v13, v11, v1
	v_fma_f16 v12, -v17, v11, v12
	v_fma_f16 v1, v13, v11, -v1
	v_fma_f16 v8, -v14, v13, v8
	v_fma_f16 v11, v17, v14, v18
	v_fma_f16 v12, v14, v13, v12
	;; [unrolled: 1-line block ×3, first 2 shown]
	v_pack_b32_f16 v8, v8, v11
	v_pack_b32_f16 v1, v12, v1
	ds_write_b32 v33, v8 offset:1344
	ds_write_b32 v7, v1 offset:4256
	ds_read_b32 v1, v33 offset:1568
	ds_read_b32 v8, v7 offset:4032
	s_waitcnt vmcnt(3)
	v_lshrrev_b32_e32 v11, 16, v15
	s_waitcnt lgkmcnt(0)
	v_add_f16_e32 v12, v1, v8
	v_add_f16_sdwa v13, v8, v1 dst_sel:DWORD dst_unused:UNUSED_PAD src0_sel:WORD_1 src1_sel:WORD_1
	v_sub_f16_e32 v14, v1, v8
	v_sub_f16_sdwa v1, v1, v8 dst_sel:DWORD dst_unused:UNUSED_PAD src0_sel:WORD_1 src1_sel:WORD_1
	v_fma_f16 v8, v14, v11, v12
	v_fma_f16 v17, v13, v11, v1
	v_fma_f16 v12, -v14, v11, v12
	v_fma_f16 v1, v13, v11, -v1
	v_fma_f16 v8, -v15, v13, v8
	v_fma_f16 v17, v14, v15, v17
	v_fma_f16 v12, v15, v13, v12
	;; [unrolled: 1-line block ×3, first 2 shown]
	v_pack_b32_f16 v8, v8, v17
	v_pack_b32_f16 v1, v12, v1
	ds_write_b32 v33, v8 offset:1568
	ds_write_b32 v7, v1 offset:4032
	global_load_dword v1, v[5:6], off offset:2464
	ds_read_b32 v8, v33 offset:1792
	ds_read_b32 v11, v7 offset:3808
	s_waitcnt lgkmcnt(0)
	v_add_f16_e32 v12, v8, v11
	v_add_f16_sdwa v13, v11, v8 dst_sel:DWORD dst_unused:UNUSED_PAD src0_sel:WORD_1 src1_sel:WORD_1
	v_sub_f16_e32 v14, v8, v11
	v_sub_f16_sdwa v8, v8, v11 dst_sel:DWORD dst_unused:UNUSED_PAD src0_sel:WORD_1 src1_sel:WORD_1
	s_waitcnt vmcnt(3)
	v_lshrrev_b32_e32 v11, 16, v16
	v_fma_f16 v15, v14, v11, v12
	v_fma_f16 v17, v13, v11, v8
	v_fma_f16 v12, -v14, v11, v12
	v_fma_f16 v8, v13, v11, -v8
	v_fma_f16 v15, -v16, v13, v15
	v_fma_f16 v17, v14, v16, v17
	v_fma_f16 v12, v16, v13, v12
	v_fma_f16 v8, v14, v16, v8
	v_pack_b32_f16 v15, v15, v17
	v_pack_b32_f16 v8, v12, v8
	ds_write_b32 v33, v15 offset:1792
	ds_write_b32 v7, v8 offset:3808
	ds_read_b32 v8, v33 offset:2016
	ds_read_b32 v11, v7 offset:3584
	s_waitcnt lgkmcnt(0)
	v_add_f16_e32 v12, v8, v11
	v_add_f16_sdwa v13, v11, v8 dst_sel:DWORD dst_unused:UNUSED_PAD src0_sel:WORD_1 src1_sel:WORD_1
	v_sub_f16_e32 v14, v8, v11
	v_sub_f16_sdwa v8, v8, v11 dst_sel:DWORD dst_unused:UNUSED_PAD src0_sel:WORD_1 src1_sel:WORD_1
	s_waitcnt vmcnt(2)
	v_lshrrev_b32_e32 v11, 16, v9
	v_fma_f16 v15, v14, v11, v12
	v_fma_f16 v16, v13, v11, v8
	v_fma_f16 v12, -v14, v11, v12
	v_fma_f16 v8, v13, v11, -v8
	v_fma_f16 v15, -v9, v13, v15
	v_fma_f16 v16, v14, v9, v16
	v_fma_f16 v12, v9, v13, v12
	v_fma_f16 v8, v14, v9, v8
	v_pack_b32_f16 v15, v15, v16
	v_pack_b32_f16 v8, v12, v8
	ds_write_b32 v33, v15 offset:2016
	ds_write_b32 v7, v8 offset:3584
	;; [unrolled: 21-line block ×4, first 2 shown]
	s_and_saveexec_b64 s[2:3], vcc
	s_cbranch_execz .LBB0_19
; %bb.18:
	global_load_dword v1, v[5:6], off offset:2688
	ds_read_b32 v5, v33 offset:2688
	ds_read_b32 v6, v7 offset:2912
	s_waitcnt lgkmcnt(0)
	v_add_f16_e32 v8, v5, v6
	v_add_f16_sdwa v9, v6, v5 dst_sel:DWORD dst_unused:UNUSED_PAD src0_sel:WORD_1 src1_sel:WORD_1
	v_sub_f16_e32 v10, v5, v6
	v_sub_f16_sdwa v5, v5, v6 dst_sel:DWORD dst_unused:UNUSED_PAD src0_sel:WORD_1 src1_sel:WORD_1
	s_waitcnt vmcnt(0)
	v_lshrrev_b32_e32 v6, 16, v1
	v_fma_f16 v11, v10, v6, v8
	v_fma_f16 v12, v9, v6, v5
	v_fma_f16 v8, -v10, v6, v8
	v_fma_f16 v5, v9, v6, -v5
	v_fma_f16 v6, -v1, v9, v11
	v_fma_f16 v11, v10, v1, v12
	v_fma_f16 v8, v1, v9, v8
	;; [unrolled: 1-line block ×3, first 2 shown]
	v_pack_b32_f16 v5, v6, v11
	v_pack_b32_f16 v1, v8, v1
	ds_write_b32 v33, v5 offset:2688
	ds_write_b32 v7, v1 offset:2912
.LBB0_19:
	s_or_b64 exec, exec, s[2:3]
	v_add_u32_e32 v5, 0x800, v33
	v_add_u32_e32 v1, 0x1400, v33
	s_waitcnt lgkmcnt(0)
	; wave barrier
	s_waitcnt lgkmcnt(0)
	s_waitcnt lgkmcnt(0)
	; wave barrier
	s_waitcnt lgkmcnt(0)
	ds_read2_b32 v[13:14], v5 offset0:160 offset1:188
	ds_read2_b32 v[15:16], v1 offset0:36 offset1:92
	ds_read2_b32 v[10:11], v33 offset1:56
	v_add_u32_e32 v1, 0xa00, v33
	ds_read2_b32 v[17:18], v1 offset0:116 offset1:172
	ds_read2_b32 v[19:20], v33 offset0:112 offset1:168
	v_add_u32_e32 v1, 0xe00, v33
	v_add_u32_e32 v6, 0xc00, v33
	s_waitcnt lgkmcnt(2)
	v_pk_add_f16 v12, v10, v14 neg_lo:[0,1] neg_hi:[0,1]
	ds_read2_b32 v[21:22], v1 offset0:84 offset1:140
	v_lshl_add_u32 v1, v0, 3, 0
	v_pk_fma_f16 v10, v10, 2.0, v12 op_sel_hi:[1,0,1] neg_lo:[0,0,1] neg_hi:[0,0,1]
	v_add_u32_e32 v7, 0x200, v33
	v_add_u32_e32 v8, 0x400, v33
	;; [unrolled: 1-line block ×3, first 2 shown]
	ds_read2_b32 v[23:24], v6 offset0:100 offset1:156
	ds_read2_b32 v[25:26], v7 offset0:96 offset1:152
	;; [unrolled: 1-line block ×7, first 2 shown]
	s_waitcnt lgkmcnt(0)
	; wave barrier
	s_waitcnt lgkmcnt(0)
	ds_write2_b32 v1, v10, v12 offset1:1
	v_pk_add_f16 v1, v11, v17 neg_lo:[0,1] neg_hi:[0,1]
	v_add_u32_e32 v36, 56, v0
	v_pk_fma_f16 v10, v11, 2.0, v1 op_sel_hi:[1,0,1] neg_lo:[0,0,1] neg_hi:[0,0,1]
	v_lshl_add_u32 v11, v36, 3, 0
	ds_write2_b32 v11, v10, v1 offset1:1
	v_pk_add_f16 v1, v19, v18 neg_lo:[0,1] neg_hi:[0,1]
	v_add_u32_e32 v35, 0x70, v0
	v_lshl_add_u32 v10, v35, 3, 0
	v_pk_fma_f16 v11, v19, 2.0, v1 op_sel_hi:[1,0,1] neg_lo:[0,0,1] neg_hi:[0,0,1]
	ds_write2_b32 v10, v11, v1 offset1:1
	v_pk_add_f16 v1, v20, v23 neg_lo:[0,1] neg_hi:[0,1]
	v_add_u32_e32 v34, 0xa8, v0
	v_pk_fma_f16 v10, v20, 2.0, v1 op_sel_hi:[1,0,1] neg_lo:[0,0,1] neg_hi:[0,0,1]
	v_lshl_add_u32 v11, v34, 3, 0
	ds_write2_b32 v11, v10, v1 offset1:1
	v_pk_add_f16 v10, v25, v24 neg_lo:[0,1] neg_hi:[0,1]
	v_add_u32_e32 v1, 0xe0, v0
	v_lshl_add_u32 v11, v1, 3, 0
	v_pk_fma_f16 v12, v25, 2.0, v10 op_sel_hi:[1,0,1] neg_lo:[0,0,1] neg_hi:[0,0,1]
	ds_write2_b32 v11, v12, v10 offset1:1
	v_pk_add_f16 v11, v26, v21 neg_lo:[0,1] neg_hi:[0,1]
	v_add_u32_e32 v10, 0x118, v0
	v_pk_fma_f16 v12, v26, 2.0, v11 op_sel_hi:[1,0,1] neg_lo:[0,0,1] neg_hi:[0,0,1]
	v_lshl_add_u32 v14, v10, 3, 0
	ds_write2_b32 v14, v12, v11 offset1:1
	v_pk_add_f16 v12, v27, v22 neg_lo:[0,1] neg_hi:[0,1]
	v_add_u32_e32 v11, 0x150, v0
	v_lshl_add_u32 v14, v11, 3, 0
	v_pk_fma_f16 v17, v27, 2.0, v12 op_sel_hi:[1,0,1] neg_lo:[0,0,1] neg_hi:[0,0,1]
	ds_write2_b32 v14, v17, v12 offset1:1
	v_pk_add_f16 v14, v28, v29 neg_lo:[0,1] neg_hi:[0,1]
	v_add_u32_e32 v12, 0x188, v0
	v_pk_fma_f16 v17, v28, 2.0, v14 op_sel_hi:[1,0,1] neg_lo:[0,0,1] neg_hi:[0,0,1]
	v_lshl_add_u32 v18, v12, 3, 0
	ds_write2_b32 v18, v17, v14 offset1:1
	v_pk_add_f16 v14, v31, v30 neg_lo:[0,1] neg_hi:[0,1]
	v_or_b32_e32 v42, 0x1c0, v0
	v_lshl_add_u32 v17, v42, 3, 0
	v_pk_fma_f16 v18, v31, 2.0, v14 op_sel_hi:[1,0,1] neg_lo:[0,0,1] neg_hi:[0,0,1]
	ds_write2_b32 v17, v18, v14 offset1:1
	v_pk_add_f16 v14, v32, v37 neg_lo:[0,1] neg_hi:[0,1]
	v_add_u32_e32 v43, 0x1f8, v0
	v_pk_fma_f16 v17, v32, 2.0, v14 op_sel_hi:[1,0,1] neg_lo:[0,0,1] neg_hi:[0,0,1]
	v_lshl_add_u32 v18, v43, 3, 0
	ds_write2_b32 v18, v17, v14 offset1:1
	v_pk_add_f16 v14, v39, v38 neg_lo:[0,1] neg_hi:[0,1]
	v_add_u32_e32 v44, 0x230, v0
	v_lshl_add_u32 v17, v44, 3, 0
	v_pk_fma_f16 v18, v39, 2.0, v14 op_sel_hi:[1,0,1] neg_lo:[0,0,1] neg_hi:[0,0,1]
	ds_write2_b32 v17, v18, v14 offset1:1
	v_pk_add_f16 v14, v40, v15 neg_lo:[0,1] neg_hi:[0,1]
	v_add_u32_e32 v45, 0x268, v0
	v_pk_add_f16 v47, v13, v16 neg_lo:[0,1] neg_hi:[0,1]
	v_pk_fma_f16 v15, v40, 2.0, v14 op_sel_hi:[1,0,1] neg_lo:[0,0,1] neg_hi:[0,0,1]
	v_lshl_add_u32 v17, v45, 3, 0
	v_pk_fma_f16 v46, v13, 2.0, v47 op_sel_hi:[1,0,1] neg_lo:[0,0,1] neg_hi:[0,0,1]
	v_add_u32_e32 v29, 0x2a0, v0
	ds_write2_b32 v17, v15, v14 offset1:1
	s_and_saveexec_b64 s[2:3], vcc
	s_cbranch_execz .LBB0_21
; %bb.20:
	v_lshl_add_u32 v13, v29, 3, 0
	ds_write2_b32 v13, v46, v47 offset1:1
.LBB0_21:
	s_or_b64 exec, exec, s[2:3]
	v_lshlrev_b32_e32 v40, 1, v11
	v_lshlrev_b32_e32 v41, 1, v12
	s_waitcnt lgkmcnt(0)
	; wave barrier
	s_waitcnt lgkmcnt(0)
	ds_read2_b32 v[27:28], v5 offset0:188 offset1:244
	ds_read2_b32 v[25:26], v6 offset0:44 offset1:100
	ds_read2_b32 v[17:18], v7 offset0:96 offset1:152
	ds_read2_b32 v[23:24], v6 offset0:156 offset1:212
	ds_read2_b32 v[13:14], v8 offset0:80 offset1:136
	ds_read2_b32 v[15:16], v9 offset0:12 offset1:68
	ds_read2_b32 v[7:8], v8 offset0:192 offset1:248
	ds_read2_b32 v[11:12], v9 offset0:124 offset1:180
	ds_read2_b32 v[5:6], v5 offset0:48 offset1:104
	v_add_u32_e32 v9, 0x1200, v33
	v_lshlrev_b32_e32 v39, 1, v10
	ds_read2_b32 v[9:10], v9 offset0:108 offset1:164
	ds_read2_b32 v[21:22], v33 offset1:56
	ds_read2_b32 v[19:20], v33 offset0:112 offset1:168
	v_lshlrev_b32_e32 v30, 1, v0
	v_lshlrev_b32_e32 v31, 1, v36
	;; [unrolled: 1-line block ×9, first 2 shown]
	s_and_saveexec_b64 s[2:3], vcc
	s_cbranch_execz .LBB0_23
; %bb.22:
	ds_read_b32 v46, v33 offset:2688
	ds_read_b32 v47, v33 offset:5488
.LBB0_23:
	s_or_b64 exec, exec, s[2:3]
	v_and_b32_e32 v49, 1, v0
	v_lshlrev_b32_e32 v48, 2, v49
	global_load_dword v48, v48, s[8:9]
	s_mov_b32 s2, 0xffff
	s_movk_i32 s3, 0x7c
	s_movk_i32 s4, 0xfc
	;; [unrolled: 1-line block ×4, first 2 shown]
	v_and_or_b32 v51, v30, s3, v49
	s_movk_i32 s7, 0x2fc
	v_and_or_b32 v53, v31, s4, v49
	v_and_or_b32 v54, v32, s5, v49
	;; [unrolled: 1-line block ×4, first 2 shown]
	v_lshl_add_u32 v51, v51, 2, 0
	v_and_or_b32 v57, v39, s7, v49
	s_waitcnt lgkmcnt(0)
	; wave barrier
	s_waitcnt lgkmcnt(0)
	v_lshl_add_u32 v53, v53, 2, 0
	v_lshl_add_u32 v54, v54, 2, 0
	;; [unrolled: 1-line block ×5, first 2 shown]
	v_and_or_b32 v58, v40, s6, v49
	v_lshl_add_u32 v58, v58, 2, 0
	v_and_or_b32 v59, v41, s6, v49
	v_lshl_add_u32 v59, v59, 2, 0
	;; [unrolled: 2-line block ×3, first 2 shown]
	s_movk_i32 s10, 0x7fc
	v_and_or_b32 v61, v43, s10, v49
	v_lshl_add_u32 v61, v61, 2, 0
	v_lshrrev_b32_e32 v50, 16, v47
	v_lshrrev_b32_e32 v52, 16, v46
	s_movk_i32 s11, 0x4fc
	s_movk_i32 s14, 0x5fc
	v_and_or_b32 v62, v44, s11, v49
	v_and_or_b32 v63, v45, s14, v49
	v_lshl_add_u32 v62, v62, 2, 0
	v_lshl_add_u32 v63, v63, 2, 0
	s_waitcnt vmcnt(0)
	v_pk_mul_f16 v64, v48, v27 op_sel:[0,1]
	v_pk_mul_f16 v65, v48, v28 op_sel:[0,1]
	;; [unrolled: 1-line block ×5, first 2 shown]
	v_pk_fma_f16 v74, v48, v27, v64 op_sel:[0,0,1] op_sel_hi:[1,1,0] neg_lo:[0,0,1] neg_hi:[0,0,1]
	v_pk_fma_f16 v27, v48, v27, v64 op_sel:[0,0,1] op_sel_hi:[1,0,0]
	v_pk_fma_f16 v64, v48, v28, v65 op_sel:[0,0,1] op_sel_hi:[1,1,0] neg_lo:[0,0,1] neg_hi:[0,0,1]
	v_pk_fma_f16 v28, v48, v28, v65 op_sel:[0,0,1] op_sel_hi:[1,0,0]
	;; [unrolled: 2-line block ×5, first 2 shown]
	v_pk_mul_f16 v72, v48, v24 op_sel:[0,1]
	v_bfi_b32 v27, s2, v74, v27
	v_bfi_b32 v23, s2, v67, v23
	v_pk_fma_f16 v68, v48, v24, v72 op_sel:[0,0,1] op_sel_hi:[1,1,0] neg_lo:[0,0,1] neg_hi:[0,0,1]
	v_pk_fma_f16 v24, v48, v24, v72 op_sel:[0,0,1] op_sel_hi:[1,0,0]
	v_bfi_b32 v28, s2, v64, v28
	v_bfi_b32 v25, s2, v65, v25
	;; [unrolled: 1-line block ×3, first 2 shown]
	v_pk_add_f16 v27, v21, v27 neg_lo:[0,1] neg_hi:[0,1]
	v_pk_add_f16 v23, v17, v23 neg_lo:[0,1] neg_hi:[0,1]
	v_bfi_b32 v24, s2, v68, v24
	v_pk_add_f16 v28, v22, v28 neg_lo:[0,1] neg_hi:[0,1]
	v_pk_add_f16 v25, v19, v25 neg_lo:[0,1] neg_hi:[0,1]
	;; [unrolled: 1-line block ×3, first 2 shown]
	v_pk_fma_f16 v21, v21, 2.0, v27 op_sel_hi:[1,0,1] neg_lo:[0,0,1] neg_hi:[0,0,1]
	v_pk_fma_f16 v17, v17, 2.0, v23 op_sel_hi:[1,0,1] neg_lo:[0,0,1] neg_hi:[0,0,1]
	;; [unrolled: 1-line block ×5, first 2 shown]
	ds_write2_b32 v51, v21, v27 offset1:2
	ds_write2_b32 v53, v22, v28 offset1:2
	;; [unrolled: 1-line block ×5, first 2 shown]
	v_pk_add_f16 v17, v18, v24 neg_lo:[0,1] neg_hi:[0,1]
	v_pk_fma_f16 v18, v18, 2.0, v17 op_sel_hi:[1,0,1] neg_lo:[0,0,1] neg_hi:[0,0,1]
	ds_write2_b32 v57, v18, v17 offset1:2
	v_pk_mul_f16 v17, v48, v15 op_sel:[0,1]
	v_pk_fma_f16 v18, v48, v15, v17 op_sel:[0,0,1] op_sel_hi:[1,1,0] neg_lo:[0,0,1] neg_hi:[0,0,1]
	v_pk_fma_f16 v15, v48, v15, v17 op_sel:[0,0,1] op_sel_hi:[1,0,0]
	v_bfi_b32 v15, s2, v18, v15
	v_pk_add_f16 v15, v13, v15 neg_lo:[0,1] neg_hi:[0,1]
	v_pk_fma_f16 v13, v13, 2.0, v15 op_sel_hi:[1,0,1] neg_lo:[0,0,1] neg_hi:[0,0,1]
	ds_write2_b32 v58, v13, v15 offset1:2
	v_pk_mul_f16 v13, v48, v16 op_sel:[0,1]
	v_pk_fma_f16 v15, v48, v16, v13 op_sel:[0,0,1] op_sel_hi:[1,1,0] neg_lo:[0,0,1] neg_hi:[0,0,1]
	v_pk_fma_f16 v13, v48, v16, v13 op_sel:[0,0,1] op_sel_hi:[1,0,0]
	v_bfi_b32 v13, s2, v15, v13
	;; [unrolled: 7-line block ×4, first 2 shown]
	v_pk_add_f16 v7, v8, v7 neg_lo:[0,1] neg_hi:[0,1]
	v_pk_fma_f16 v8, v8, 2.0, v7 op_sel_hi:[1,0,1] neg_lo:[0,0,1] neg_hi:[0,0,1]
	ds_write2_b32 v61, v8, v7 offset1:2
	v_pk_mul_f16 v7, v48, v9 op_sel:[0,1]
	v_mul_f16_e32 v69, v47, v48
	v_lshrrev_b32_e32 v70, 16, v48
	v_mul_f16_e32 v71, v50, v48
	v_pk_mul_f16 v73, v48, v10 op_sel:[0,1]
	v_pk_fma_f16 v8, v48, v9, v7 op_sel:[0,0,1] op_sel_hi:[1,1,0] neg_lo:[0,0,1] neg_hi:[0,0,1]
	v_pk_fma_f16 v7, v48, v9, v7 op_sel:[0,0,1] op_sel_hi:[1,0,0]
	v_fma_f16 v50, -v50, v70, v69
	v_fma_f16 v47, v47, v70, v71
	v_pk_fma_f16 v69, v48, v10, v73 op_sel:[0,0,1] op_sel_hi:[1,1,0] neg_lo:[0,0,1] neg_hi:[0,0,1]
	v_pk_fma_f16 v10, v48, v10, v73 op_sel:[0,0,1] op_sel_hi:[1,0,0]
	v_bfi_b32 v7, s2, v8, v7
	v_bfi_b32 v10, s2, v69, v10
	v_sub_f16_e32 v50, v46, v50
	v_sub_f16_e32 v51, v52, v47
	v_pk_add_f16 v7, v5, v7 neg_lo:[0,1] neg_hi:[0,1]
	v_pk_add_f16 v10, v6, v10 neg_lo:[0,1] neg_hi:[0,1]
	v_fma_f16 v46, v46, 2.0, -v50
	v_fma_f16 v47, v52, 2.0, -v51
	v_pk_fma_f16 v5, v5, 2.0, v7 op_sel_hi:[1,0,1] neg_lo:[0,0,1] neg_hi:[0,0,1]
	v_lshlrev_b32_e32 v48, 1, v29
	v_pk_fma_f16 v6, v6, 2.0, v10 op_sel_hi:[1,0,1] neg_lo:[0,0,1] neg_hi:[0,0,1]
	ds_write2_b32 v62, v5, v7 offset1:2
	ds_write2_b32 v63, v6, v10 offset1:2
	s_and_saveexec_b64 s[2:3], vcc
	s_cbranch_execz .LBB0_25
; %bb.24:
	s_movk_i32 s4, 0x57c
	v_and_or_b32 v5, v48, s4, v49
	s_mov_b32 s4, 0x5040100
	v_lshl_add_u32 v5, v5, 2, 0
	v_perm_b32 v6, v47, v46, s4
	v_perm_b32 v7, v51, v50, s4
	ds_write2_b32 v5, v6, v7 offset1:2
.LBB0_25:
	s_or_b64 exec, exec, s[2:3]
	v_add_u32_e32 v5, 0x800, v33
	v_add_u32_e32 v6, 0xc00, v33
	;; [unrolled: 1-line block ×3, first 2 shown]
	s_waitcnt lgkmcnt(0)
	; wave barrier
	s_waitcnt lgkmcnt(0)
	ds_read2_b32 v[20:21], v33 offset1:56
	ds_read2_b32 v[28:29], v5 offset0:188 offset1:244
	ds_read2_b32 v[22:23], v33 offset0:112 offset1:168
	;; [unrolled: 1-line block ×5, first 2 shown]
	v_add_u32_e32 v6, 0x400, v33
	v_add_u32_e32 v7, 0x1000, v33
	ds_read2_b32 v[14:15], v6 offset0:80 offset1:136
	ds_read2_b32 v[16:17], v7 offset0:12 offset1:68
	;; [unrolled: 1-line block ×5, first 2 shown]
	v_add_u32_e32 v5, 0x1200, v33
	ds_read2_b32 v[10:11], v5 offset0:108 offset1:164
	s_and_saveexec_b64 s[2:3], vcc
	s_cbranch_execz .LBB0_27
; %bb.26:
	ds_read_b32 v46, v33 offset:2688
	ds_read_b32 v50, v33 offset:5488
	s_waitcnt lgkmcnt(1)
	v_lshrrev_b32_e32 v47, 16, v46
	s_waitcnt lgkmcnt(0)
	v_lshrrev_b32_e32 v51, 16, v50
.LBB0_27:
	s_or_b64 exec, exec, s[2:3]
	v_and_b32_e32 v49, 3, v0
	v_lshlrev_b32_e32 v5, 2, v49
	global_load_dword v52, v5, s[8:9] offset:8
	s_movk_i32 s2, 0x78
	s_movk_i32 s3, 0xf8
	;; [unrolled: 1-line block ×8, first 2 shown]
	v_and_or_b32 v5, v30, s2, v49
	v_and_or_b32 v30, v31, s3, v49
	;; [unrolled: 1-line block ×12, first 2 shown]
	v_lshl_add_u32 v45, v5, 2, 0
	v_lshl_add_u32 v53, v37, 2, 0
	s_mov_b32 s14, 0xffff
	v_lshl_add_u32 v30, v30, 2, 0
	v_lshl_add_u32 v31, v31, 2, 0
	;; [unrolled: 1-line block ×3, first 2 shown]
	s_waitcnt lgkmcnt(0)
	; wave barrier
	s_waitcnt lgkmcnt(0)
	v_lshl_add_u32 v38, v38, 2, 0
	v_lshl_add_u32 v39, v39, 2, 0
	;; [unrolled: 1-line block ×7, first 2 shown]
	s_waitcnt vmcnt(0)
	v_pk_mul_f16 v5, v52, v11 op_sel:[0,1]
	v_mul_f16_sdwa v37, v51, v52 dst_sel:DWORD dst_unused:UNUSED_PAD src0_sel:DWORD src1_sel:WORD_1
	v_pk_mul_f16 v55, v52, v28 op_sel:[0,1]
	v_mul_f16_sdwa v54, v50, v52 dst_sel:DWORD dst_unused:UNUSED_PAD src0_sel:DWORD src1_sel:WORD_1
	v_pk_mul_f16 v56, v52, v29 op_sel:[0,1]
	v_pk_mul_f16 v57, v52, v26 op_sel:[0,1]
	;; [unrolled: 1-line block ×4, first 2 shown]
	v_pk_fma_f16 v61, v52, v11, v5 op_sel:[0,0,1] op_sel_hi:[1,1,0] neg_lo:[0,0,1] neg_hi:[0,0,1]
	v_pk_fma_f16 v5, v52, v11, v5 op_sel:[0,0,1] op_sel_hi:[1,0,0]
	v_fma_f16 v11, v50, v52, -v37
	v_pk_fma_f16 v50, v52, v28, v55 op_sel:[0,0,1] op_sel_hi:[1,1,0] neg_lo:[0,0,1] neg_hi:[0,0,1]
	v_pk_fma_f16 v28, v52, v28, v55 op_sel:[0,0,1] op_sel_hi:[1,0,0]
	v_fma_f16 v37, v51, v52, v54
	v_pk_fma_f16 v51, v52, v29, v56 op_sel:[0,0,1] op_sel_hi:[1,1,0] neg_lo:[0,0,1] neg_hi:[0,0,1]
	v_pk_fma_f16 v29, v52, v29, v56 op_sel:[0,0,1] op_sel_hi:[1,0,0]
	v_pk_fma_f16 v54, v52, v26, v57 op_sel:[0,0,1] op_sel_hi:[1,1,0] neg_lo:[0,0,1] neg_hi:[0,0,1]
	v_pk_fma_f16 v26, v52, v26, v57 op_sel:[0,0,1] op_sel_hi:[1,0,0]
	;; [unrolled: 2-line block ×4, first 2 shown]
	v_bfi_b32 v58, s14, v61, v5
	v_sub_f16_e32 v5, v46, v11
	v_bfi_b32 v11, s14, v50, v28
	v_pk_mul_f16 v60, v52, v25 op_sel:[0,1]
	v_bfi_b32 v28, s14, v51, v29
	v_bfi_b32 v26, s14, v54, v26
	v_bfi_b32 v27, s14, v55, v27
	v_bfi_b32 v24, s14, v56, v24
	v_pk_add_f16 v11, v20, v11 neg_lo:[0,1] neg_hi:[0,1]
	v_pk_fma_f16 v57, v52, v25, v60 op_sel:[0,0,1] op_sel_hi:[1,1,0] neg_lo:[0,0,1] neg_hi:[0,0,1]
	v_pk_fma_f16 v25, v52, v25, v60 op_sel:[0,0,1] op_sel_hi:[1,0,0]
	v_pk_add_f16 v28, v21, v28 neg_lo:[0,1] neg_hi:[0,1]
	v_pk_add_f16 v26, v22, v26 neg_lo:[0,1] neg_hi:[0,1]
	;; [unrolled: 1-line block ×4, first 2 shown]
	v_pk_fma_f16 v20, v20, 2.0, v11 op_sel_hi:[1,0,1] neg_lo:[0,0,1] neg_hi:[0,0,1]
	v_pk_fma_f16 v21, v21, 2.0, v28 op_sel_hi:[1,0,1] neg_lo:[0,0,1] neg_hi:[0,0,1]
	;; [unrolled: 1-line block ×5, first 2 shown]
	ds_write2_b32 v45, v20, v11 offset1:4
	ds_write2_b32 v30, v21, v28 offset1:4
	;; [unrolled: 1-line block ×5, first 2 shown]
	v_bfi_b32 v11, s14, v57, v25
	v_pk_add_f16 v11, v19, v11 neg_lo:[0,1] neg_hi:[0,1]
	v_pk_fma_f16 v18, v19, 2.0, v11 op_sel_hi:[1,0,1] neg_lo:[0,0,1] neg_hi:[0,0,1]
	ds_write2_b32 v38, v18, v11 offset1:4
	v_pk_mul_f16 v11, v52, v16 op_sel:[0,1]
	v_pk_fma_f16 v18, v52, v16, v11 op_sel:[0,0,1] op_sel_hi:[1,1,0] neg_lo:[0,0,1] neg_hi:[0,0,1]
	v_pk_fma_f16 v11, v52, v16, v11 op_sel:[0,0,1] op_sel_hi:[1,0,0]
	v_bfi_b32 v11, s14, v18, v11
	v_pk_add_f16 v11, v14, v11 neg_lo:[0,1] neg_hi:[0,1]
	v_pk_fma_f16 v14, v14, 2.0, v11 op_sel_hi:[1,0,1] neg_lo:[0,0,1] neg_hi:[0,0,1]
	ds_write2_b32 v39, v14, v11 offset1:4
	v_pk_mul_f16 v11, v52, v17 op_sel:[0,1]
	v_pk_fma_f16 v14, v52, v17, v11 op_sel:[0,0,1] op_sel_hi:[1,1,0] neg_lo:[0,0,1] neg_hi:[0,0,1]
	v_pk_fma_f16 v11, v52, v17, v11 op_sel:[0,0,1] op_sel_hi:[1,0,0]
	;; [unrolled: 7-line block ×5, first 2 shown]
	v_bfi_b32 v8, s14, v9, v8
	v_pk_add_f16 v8, v6, v8 neg_lo:[0,1] neg_hi:[0,1]
	v_sub_f16_e32 v37, v47, v37
	v_pk_add_f16 v29, v7, v58 neg_lo:[0,1] neg_hi:[0,1]
	v_pk_fma_f16 v6, v6, 2.0, v8 op_sel_hi:[1,0,1] neg_lo:[0,0,1] neg_hi:[0,0,1]
	v_pk_fma_f16 v7, v7, 2.0, v29 op_sel_hi:[1,0,1] neg_lo:[0,0,1] neg_hi:[0,0,1]
	ds_write2_b32 v43, v6, v8 offset1:4
	ds_write2_b32 v44, v7, v29 offset1:4
	s_and_saveexec_b64 s[2:3], vcc
	s_cbranch_execz .LBB0_29
; %bb.28:
	s_movk_i32 s4, 0x578
	v_and_or_b32 v6, v48, s4, v49
	v_fma_f16 v7, v46, 2.0, -v5
	v_fma_f16 v8, v47, 2.0, -v37
	s_mov_b32 s4, 0x5040100
	v_lshl_add_u32 v6, v6, 2, 0
	v_pack_b32_f16 v7, v7, v8
	v_perm_b32 v8, v37, v5, s4
	ds_write2_b32 v6, v7, v8 offset1:4
.LBB0_29:
	s_or_b64 exec, exec, s[2:3]
	v_and_b32_e32 v13, 7, v0
	v_lshlrev_b32_e32 v6, 4, v13
	s_waitcnt lgkmcnt(0)
	; wave barrier
	s_waitcnt lgkmcnt(0)
	global_load_dwordx4 v[54:57], v6, s[8:9] offset:24
	v_add_u32_e32 v12, 0x800, v33
	v_add_u32_e32 v18, 0xc00, v33
	;; [unrolled: 1-line block ×6, first 2 shown]
	ds_read2_b32 v[6:7], v12 offset0:48 offset1:104
	ds_read2_b32 v[8:9], v18 offset0:16 offset1:72
	;; [unrolled: 1-line block ×9, first 2 shown]
	s_waitcnt lgkmcnt(8)
	v_lshrrev_b32_e32 v38, 16, v6
	s_waitcnt lgkmcnt(6)
	v_lshrrev_b32_e32 v10, 16, v14
	;; [unrolled: 2-line block ×3, first 2 shown]
	v_lshrrev_b32_e32 v32, 16, v20
	s_waitcnt lgkmcnt(1)
	v_lshrrev_b32_e32 v64, 16, v28
	v_lshrrev_b32_e32 v16, 16, v19
	;; [unrolled: 1-line block ×11, first 2 shown]
	s_waitcnt lgkmcnt(0)
	v_lshrrev_b32_e32 v65, 16, v58
	v_lshrrev_b32_e32 v62, 16, v26
	s_movk_i32 s4, 0x3b9c
	s_mov_b32 s5, 0xbb9c
	s_movk_i32 s3, 0x38b4
	s_mov_b32 s6, 0xb8b4
	s_movk_i32 s2, 0x34f2
	v_cmp_gt_u32_e32 vcc, 32, v0
	s_waitcnt vmcnt(0)
	v_mul_f16_sdwa v40, v55, v38 dst_sel:DWORD dst_unused:UNUSED_PAD src0_sel:WORD_1 src1_sel:DWORD
	v_mul_f16_sdwa v45, v55, v6 dst_sel:DWORD dst_unused:UNUSED_PAD src0_sel:WORD_1 src1_sel:DWORD
	v_mul_f16_sdwa v41, v10, v57 dst_sel:DWORD dst_unused:UNUSED_PAD src0_sel:DWORD src1_sel:WORD_1
	v_mul_f16_sdwa v49, v30, v56 dst_sel:DWORD dst_unused:UNUSED_PAD src0_sel:DWORD src1_sel:WORD_1
	;; [unrolled: 1-line block ×3, first 2 shown]
	v_fma_f16 v81, v55, v6, -v40
	v_mul_f16_sdwa v6, v28, v54 dst_sel:DWORD dst_unused:UNUSED_PAD src0_sel:DWORD src1_sel:WORD_1
	v_mul_f16_sdwa v68, v21, v56 dst_sel:DWORD dst_unused:UNUSED_PAD src0_sel:DWORD src1_sel:WORD_1
	v_fma_f16 v82, v14, v57, -v41
	v_fma_f16 v41, v20, v54, -v53
	;; [unrolled: 1-line block ×3, first 2 shown]
	v_fma_f16 v21, v64, v54, v6
	v_mul_f16_sdwa v6, v64, v54 dst_sel:DWORD dst_unused:UNUSED_PAD src0_sel:DWORD src1_sel:WORD_1
	v_mul_f16_sdwa v46, v14, v57 dst_sel:DWORD dst_unused:UNUSED_PAD src0_sel:DWORD src1_sel:WORD_1
	;; [unrolled: 1-line block ×5, first 2 shown]
	v_fma_f16 v28, v28, v54, -v6
	v_mul_f16_sdwa v6, v66, v54 dst_sel:DWORD dst_unused:UNUSED_PAD src0_sel:DWORD src1_sel:WORD_1
	v_fma_f16 v52, v19, v54, -v43
	v_fma_f16 v43, v22, v56, -v73
	v_fma_f16 v73, v10, v57, v46
	v_fma_f16 v46, v16, v54, v47
	v_fma_f16 v16, v29, v54, -v6
	v_mul_f16_sdwa v6, v29, v54 dst_sel:DWORD dst_unused:UNUSED_PAD src0_sel:DWORD src1_sel:WORD_1
	v_mul_f16_sdwa v44, v27, v55 dst_sel:DWORD dst_unused:UNUSED_PAD src0_sel:DWORD src1_sel:WORD_1
	v_fma_f16 v14, v66, v54, v6
	v_mul_f16_sdwa v6, v67, v55 dst_sel:DWORD dst_unused:UNUSED_PAD src0_sel:DWORD src1_sel:WORD_1
	v_mul_f16_sdwa v48, v7, v55 dst_sel:DWORD dst_unused:UNUSED_PAD src0_sel:DWORD src1_sel:WORD_1
	;; [unrolled: 1-line block ×4, first 2 shown]
	v_fma_f16 v50, v7, v55, -v44
	v_mul_f16_sdwa v7, v9, v56 dst_sel:DWORD dst_unused:UNUSED_PAD src0_sel:DWORD src1_sel:WORD_1
	v_fma_f16 v19, v8, v55, -v6
	v_mul_f16_sdwa v6, v8, v55 dst_sel:DWORD dst_unused:UNUSED_PAD src0_sel:DWORD src1_sel:WORD_1
	v_mul_f16_sdwa v69, v15, v57 dst_sel:DWORD dst_unused:UNUSED_PAD src0_sel:DWORD src1_sel:WORD_1
	;; [unrolled: 1-line block ×6, first 2 shown]
	v_fma_f16 v51, v15, v57, -v51
	v_fma_f16 v20, v60, v55, v76
	v_fma_f16 v60, v63, v56, v7
	v_mul_f16_sdwa v7, v63, v56 dst_sel:DWORD dst_unused:UNUSED_PAD src0_sel:DWORD src1_sel:WORD_1
	v_fma_f16 v15, v67, v55, v6
	v_mul_f16_sdwa v6, v58, v56 dst_sel:DWORD dst_unused:UNUSED_PAD src0_sel:DWORD src1_sel:WORD_1
	v_mul_f16_sdwa v71, v39, v55 dst_sel:DWORD dst_unused:UNUSED_PAD src0_sel:DWORD src1_sel:WORD_1
	;; [unrolled: 1-line block ×3, first 2 shown]
	v_fma_f16 v40, v39, v55, v72
	v_fma_f16 v39, v61, v57, v77
	v_fma_f16 v61, v9, v56, -v7
	v_lshrrev_b32_e32 v7, 16, v59
	v_fma_f16 v29, v65, v56, v6
	v_mul_f16_sdwa v6, v65, v56 dst_sel:DWORD dst_unused:UNUSED_PAD src0_sel:DWORD src1_sel:WORD_1
	ds_read_b32 v8, v33 offset:5376
	v_mul_f16_sdwa v74, v22, v56 dst_sel:DWORD dst_unused:UNUSED_PAD src0_sel:DWORD src1_sel:WORD_1
	v_fma_f16 v49, v31, v57, v69
	v_fma_f16 v31, v58, v56, -v6
	v_mul_f16_sdwa v6, v7, v56 dst_sel:DWORD dst_unused:UNUSED_PAD src0_sel:DWORD src1_sel:WORD_1
	v_fma_f16 v44, v23, v55, -v71
	v_fma_f16 v71, v55, v38, v45
	v_fma_f16 v47, v27, v55, v48
	;; [unrolled: 1-line block ×4, first 2 shown]
	v_fma_f16 v27, v59, v56, -v6
	v_mul_f16_sdwa v6, v59, v56 dst_sel:DWORD dst_unused:UNUSED_PAD src0_sel:DWORD src1_sel:WORD_1
	v_add_u32_e32 v42, 0x200, v33
	v_fma_f16 v23, v24, v55, -v75
	v_fma_f16 v24, v7, v56, v6
	ds_read2_b32 v[6:7], v42 offset0:96 offset1:152
	s_waitcnt lgkmcnt(1)
	v_lshrrev_b32_e32 v9, 16, v8
	v_mul_f16_sdwa v10, v9, v57 dst_sel:DWORD dst_unused:UNUSED_PAD src0_sel:DWORD src1_sel:WORD_1
	v_mul_f16_sdwa v79, v62, v57 dst_sel:DWORD dst_unused:UNUSED_PAD src0_sel:DWORD src1_sel:WORD_1
	v_fma_f16 v48, v30, v56, v68
	v_fma_f16 v30, v8, v57, -v10
	v_mul_f16_sdwa v8, v8, v57 dst_sel:DWORD dst_unused:UNUSED_PAD src0_sel:DWORD src1_sel:WORD_1
	v_mul_f16_sdwa v80, v26, v57 dst_sel:DWORD dst_unused:UNUSED_PAD src0_sel:DWORD src1_sel:WORD_1
	v_fma_f16 v45, v25, v57, -v78
	v_fma_f16 v25, v26, v57, -v79
	v_fma_f16 v26, v9, v57, v8
	s_waitcnt lgkmcnt(0)
	v_lshrrev_b32_e32 v8, 16, v7
	v_mul_f16_sdwa v9, v54, v7 dst_sel:DWORD dst_unused:UNUSED_PAD src0_sel:WORD_1 src1_sel:DWORD
	v_fma_f16 v58, v54, v8, v9
	v_mul_f16_sdwa v8, v54, v8 dst_sel:DWORD dst_unused:UNUSED_PAD src0_sel:WORD_1 src1_sel:DWORD
	v_fma_f16 v59, v54, v7, -v8
	v_sub_f16_e32 v7, v16, v19
	v_sub_f16_e32 v8, v30, v27
	v_add_f16_e32 v9, v7, v8
	v_sub_f16_e32 v7, v19, v16
	v_sub_f16_e32 v8, v27, v30
	v_add_f16_e32 v54, v7, v8
	v_add_f16_e32 v7, v19, v27
	v_fma_f16 v10, v7, -0.5, v6
	v_sub_f16_e32 v55, v14, v26
	v_add_f16_e32 v8, v16, v30
	v_fma_f16 v22, v62, v57, v80
	v_fma_f16 v7, v55, s4, v10
	v_sub_f16_e32 v56, v15, v24
	v_fma_f16 v57, v8, -0.5, v6
	v_fma_f16 v10, v55, s5, v10
	v_fma_f16 v7, v56, s3, v7
	;; [unrolled: 1-line block ×11, first 2 shown]
	ds_read2_b32 v[54:55], v33 offset1:56
	v_sub_f16_e32 v56, v59, v81
	v_sub_f16_e32 v57, v82, v61
	v_add_f16_e32 v62, v56, v57
	v_sub_f16_e32 v56, v58, v71
	v_sub_f16_e32 v57, v73, v60
	s_waitcnt lgkmcnt(0)
	v_lshrrev_b32_e32 v64, 16, v54
	v_add_f16_e32 v63, v56, v57
	v_add_f16_e32 v56, v54, v59
	;; [unrolled: 1-line block ×9, first 2 shown]
	v_pack_b32_f16 v65, v56, v57
	v_add_f16_e32 v56, v81, v61
	v_add_f16_e32 v57, v71, v60
	v_fma_f16 v66, v56, -0.5, v54
	v_sub_f16_e32 v67, v58, v73
	v_fma_f16 v69, v57, -0.5, v64
	v_sub_f16_e32 v70, v59, v82
	v_fma_f16 v56, v67, s4, v66
	v_sub_f16_e32 v68, v71, v60
	v_fma_f16 v57, v70, s5, v69
	v_sub_f16_e32 v72, v81, v61
	v_lshrrev_b32_e32 v75, 3, v0
	v_fma_f16 v56, v68, s3, v56
	v_fma_f16 v57, v72, s6, v57
	v_mul_u32_u24_e32 v75, 40, v75
	v_fma_f16 v56, v62, s2, v56
	v_fma_f16 v57, v63, s2, v57
	v_or_b32_e32 v75, v75, v13
	v_pack_b32_f16 v74, v56, v57
	v_lshl_add_u32 v75, v75, 2, 0
	ds_read2_b32 v[56:57], v33 offset0:112 offset1:168
	s_waitcnt lgkmcnt(0)
	; wave barrier
	s_waitcnt lgkmcnt(0)
	ds_write2_b32 v75, v65, v74 offset1:8
	v_sub_f16_e32 v65, v81, v59
	v_add_f16_e32 v59, v59, v82
	v_fma_f16 v54, v59, -0.5, v54
	v_sub_f16_e32 v61, v61, v82
	v_fma_f16 v59, v68, s5, v54
	v_fma_f16 v54, v68, s4, v54
	v_add_f16_e32 v61, v65, v61
	v_fma_f16 v59, v67, s3, v59
	v_fma_f16 v54, v67, s6, v54
	;; [unrolled: 1-line block ×4, first 2 shown]
	v_add_f16_e32 v61, v58, v73
	v_fma_f16 v61, v61, -0.5, v64
	v_sub_f16_e32 v58, v71, v58
	v_sub_f16_e32 v60, v60, v73
	v_add_f16_e32 v58, v58, v60
	v_fma_f16 v60, v72, s4, v61
	v_fma_f16 v61, v72, s5, v61
	;; [unrolled: 1-line block ×6, first 2 shown]
	v_pack_b32_f16 v59, v59, v60
	v_pack_b32_f16 v54, v54, v58
	ds_write2_b32 v75, v59, v54 offset0:16 offset1:24
	v_fma_f16 v54, v67, s5, v66
	v_fma_f16 v58, v70, s4, v69
	;; [unrolled: 1-line block ×6, first 2 shown]
	v_pack_b32_f16 v54, v54, v58
	ds_write_b32 v75, v54 offset:128
	v_add_f16_e32 v54, v50, v53
	v_add_f16_e32 v58, v52, v51
	v_sub_f16_e32 v60, v52, v50
	v_sub_f16_e32 v61, v51, v53
	v_fma_f16 v54, v54, -0.5, v55
	v_fma_f16 v58, v58, -0.5, v55
	v_lshrrev_b32_e32 v59, 16, v55
	v_add_f16_e32 v55, v55, v52
	v_add_f16_e32 v60, v60, v61
	v_sub_f16_e32 v61, v46, v49
	v_fma_f16 v62, v61, s4, v54
	v_sub_f16_e32 v63, v47, v48
	v_fma_f16 v54, v61, s5, v54
	v_add_f16_e32 v55, v55, v50
	v_fma_f16 v62, v63, s3, v62
	v_fma_f16 v54, v63, s6, v54
	v_add_f16_e32 v55, v55, v53
	v_fma_f16 v62, v60, s2, v62
	v_fma_f16 v54, v60, s2, v54
	v_sub_f16_e32 v60, v50, v52
	v_sub_f16_e32 v64, v53, v51
	v_add_f16_e32 v55, v55, v51
	v_sub_f16_e32 v51, v52, v51
	v_sub_f16_e32 v50, v50, v53
	v_sub_f16_e32 v52, v46, v47
	v_sub_f16_e32 v53, v49, v48
	v_add_f16_e32 v60, v60, v64
	v_fma_f16 v64, v63, s5, v58
	v_fma_f16 v58, v63, s4, v58
	v_add_f16_e32 v52, v52, v53
	v_add_f16_e32 v53, v47, v48
	v_fma_f16 v63, v61, s3, v64
	v_fma_f16 v58, v61, s6, v58
	v_fma_f16 v53, v53, -0.5, v59
	v_fma_f16 v61, v60, s2, v63
	v_fma_f16 v58, v60, s2, v58
	;; [unrolled: 1-line block ×8, first 2 shown]
	v_add_f16_e32 v53, v46, v49
	v_fma_f16 v53, v53, -0.5, v59
	v_add_f16_e32 v59, v59, v46
	v_add_f16_e32 v59, v59, v47
	v_sub_f16_e32 v46, v47, v46
	v_add_f16_e32 v47, v59, v48
	v_sub_f16_e32 v48, v48, v49
	v_add_f16_e32 v47, v47, v49
	v_add_f16_e32 v46, v46, v48
	v_fma_f16 v48, v50, s4, v53
	v_fma_f16 v49, v50, s5, v53
	;; [unrolled: 1-line block ×6, first 2 shown]
	v_sub_f16_e32 v49, v41, v44
	v_sub_f16_e32 v50, v45, v43
	v_add_f16_e32 v49, v49, v50
	v_add_f16_e32 v50, v44, v43
	v_fma_f16 v50, v50, -0.5, v56
	v_sub_f16_e32 v51, v38, v39
	v_fma_f16 v53, v51, s4, v50
	v_sub_f16_e32 v59, v40, v32
	v_fma_f16 v50, v51, s5, v50
	v_fma_f16 v53, v59, s3, v53
	;; [unrolled: 1-line block ×5, first 2 shown]
	v_sub_f16_e32 v50, v44, v41
	v_sub_f16_e32 v63, v43, v45
	v_add_f16_e32 v50, v50, v63
	v_add_f16_e32 v63, v41, v45
	v_fma_f16 v63, v63, -0.5, v56
	v_fma_f16 v64, v59, s5, v63
	v_fma_f16 v59, v59, s4, v63
	;; [unrolled: 1-line block ×6, first 2 shown]
	v_add_f16_e32 v51, v56, v41
	v_add_f16_e32 v51, v51, v44
	;; [unrolled: 1-line block ×4, first 2 shown]
	v_sub_f16_e32 v41, v41, v45
	v_sub_f16_e32 v43, v44, v43
	;; [unrolled: 1-line block ×4, first 2 shown]
	v_add_f16_e32 v44, v44, v45
	v_lshrrev_b32_e32 v45, 16, v56
	v_add_f16_e32 v56, v40, v32
	v_fma_f16 v56, v56, -0.5, v45
	v_fma_f16 v63, v41, s5, v56
	v_fma_f16 v56, v41, s4, v56
	;; [unrolled: 1-line block ×6, first 2 shown]
	v_add_f16_e32 v56, v38, v39
	v_fma_f16 v56, v56, -0.5, v45
	v_add_f16_e32 v45, v45, v38
	v_add_f16_e32 v45, v45, v40
	v_sub_f16_e32 v38, v40, v38
	v_add_f16_e32 v40, v45, v32
	v_sub_f16_e32 v32, v32, v39
	v_add_f16_e32 v45, v40, v39
	v_add_f16_e32 v32, v38, v32
	v_fma_f16 v38, v43, s4, v56
	v_fma_f16 v39, v43, s5, v56
	;; [unrolled: 1-line block ×6, first 2 shown]
	v_add_f16_e32 v38, v23, v31
	v_add_f16_e32 v39, v28, v25
	v_fma_f16 v38, v38, -0.5, v57
	v_fma_f16 v39, v39, -0.5, v57
	v_lshrrev_b32_e32 v40, 16, v57
	v_add_f16_e32 v41, v57, v28
	v_sub_f16_e32 v56, v28, v23
	v_sub_f16_e32 v57, v25, v31
	v_add_f16_e32 v56, v56, v57
	v_sub_f16_e32 v57, v21, v22
	v_fma_f16 v64, v57, s4, v38
	v_sub_f16_e32 v65, v20, v29
	v_fma_f16 v38, v57, s5, v38
	v_fma_f16 v64, v65, s3, v64
	;; [unrolled: 1-line block ×5, first 2 shown]
	v_sub_f16_e32 v38, v23, v28
	v_sub_f16_e32 v66, v31, v25
	v_add_f16_e32 v38, v38, v66
	v_fma_f16 v66, v65, s5, v39
	v_fma_f16 v39, v65, s4, v39
	;; [unrolled: 1-line block ×6, first 2 shown]
	v_add_f16_e32 v38, v41, v23
	v_add_f16_e32 v38, v38, v31
	;; [unrolled: 1-line block ×3, first 2 shown]
	v_sub_f16_e32 v25, v28, v25
	v_sub_f16_e32 v23, v23, v31
	;; [unrolled: 1-line block ×4, first 2 shown]
	v_add_f16_e32 v28, v28, v31
	v_add_f16_e32 v31, v20, v29
	v_fma_f16 v31, v31, -0.5, v40
	v_fma_f16 v38, v25, s5, v31
	v_fma_f16 v38, v23, s6, v38
	;; [unrolled: 1-line block ×4, first 2 shown]
	v_add_f16_e32 v38, v40, v21
	v_fma_f16 v31, v23, s3, v31
	v_add_f16_e32 v38, v38, v20
	v_fma_f16 v28, v28, s2, v31
	v_add_f16_e32 v31, v21, v22
	v_sub_f16_e32 v20, v20, v21
	v_add_f16_e32 v21, v38, v29
	v_fma_f16 v31, v31, -0.5, v40
	v_add_f16_e32 v21, v21, v22
	v_sub_f16_e32 v22, v29, v22
	v_add_f16_e32 v20, v20, v22
	v_fma_f16 v22, v23, s4, v31
	v_fma_f16 v23, v23, s5, v31
	;; [unrolled: 1-line block ×6, first 2 shown]
	v_lshrrev_b32_e32 v23, 16, v6
	v_add_f16_e32 v6, v6, v16
	v_add_f16_e32 v6, v6, v19
	;; [unrolled: 1-line block ×3, first 2 shown]
	v_sub_f16_e32 v19, v19, v27
	v_sub_f16_e32 v25, v14, v15
	;; [unrolled: 1-line block ×3, first 2 shown]
	v_add_f16_e32 v25, v25, v27
	v_add_f16_e32 v27, v15, v24
	v_sub_f16_e32 v16, v16, v30
	v_fma_f16 v27, v27, -0.5, v23
	v_fma_f16 v29, v16, s5, v27
	v_fma_f16 v27, v16, s4, v27
	;; [unrolled: 1-line block ×6, first 2 shown]
	v_add_f16_e32 v25, v14, v26
	v_fma_f16 v25, v25, -0.5, v23
	v_add_f16_e32 v23, v23, v14
	v_add_f16_e32 v23, v23, v15
	v_sub_f16_e32 v14, v15, v14
	v_add_f16_e32 v15, v23, v24
	v_sub_f16_e32 v23, v24, v26
	v_add_f16_e32 v14, v14, v23
	v_fma_f16 v23, v19, s4, v25
	v_fma_f16 v19, v19, s5, v25
	;; [unrolled: 1-line block ×5, first 2 shown]
	v_lshrrev_b32_e32 v16, 3, v36
	v_mul_u32_u24_e32 v16, 40, v16
	v_or_b32_e32 v16, v16, v13
	v_fma_f16 v40, v14, s2, v23
	v_pack_b32_f16 v14, v55, v47
	v_lshl_add_u32 v16, v16, 2, 0
	v_pack_b32_f16 v19, v62, v60
	ds_write2_b32 v16, v14, v19 offset1:8
	v_pack_b32_f16 v14, v61, v48
	v_pack_b32_f16 v19, v58, v46
	ds_write2_b32 v16, v14, v19 offset0:16 offset1:24
	v_pack_b32_f16 v14, v54, v52
	ds_write_b32 v16, v14 offset:128
	v_lshrrev_b32_e32 v14, 3, v35
	v_mul_u32_u24_e32 v14, 40, v14
	v_or_b32_e32 v14, v14, v13
	v_lshl_add_u32 v14, v14, 2, 0
	v_pack_b32_f16 v16, v51, v45
	v_pack_b32_f16 v19, v53, v63
	ds_write2_b32 v14, v16, v19 offset1:8
	v_pack_b32_f16 v16, v59, v43
	v_pack_b32_f16 v19, v50, v32
	ds_write2_b32 v14, v16, v19 offset0:16 offset1:24
	v_pack_b32_f16 v16, v49, v44
	ds_write_b32 v14, v16 offset:128
	v_lshrrev_b32_e32 v14, 3, v34
	v_mul_u32_u24_e32 v14, 40, v14
	v_or_b32_e32 v14, v14, v13
	v_lshl_add_u32 v14, v14, 2, 0
	v_pack_b32_f16 v16, v66, v21
	v_pack_b32_f16 v19, v64, v67
	ds_write2_b32 v14, v16, v19 offset1:8
	v_pack_b32_f16 v16, v57, v22
	v_pack_b32_f16 v19, v65, v20
	ds_write2_b32 v14, v16, v19 offset0:16 offset1:24
	v_pack_b32_f16 v16, v56, v28
	ds_write_b32 v14, v16 offset:128
	v_lshrrev_b32_e32 v14, 3, v1
	v_mul_u32_u24_e32 v14, 40, v14
	v_add_f16_e32 v6, v6, v30
	v_add_f16_e32 v15, v15, v26
	v_or_b32_e32 v13, v14, v13
	v_lshl_add_u32 v13, v13, 2, 0
	v_pack_b32_f16 v6, v6, v15
	v_pack_b32_f16 v14, v7, v38
	ds_write2_b32 v13, v6, v14 offset1:8
	v_pack_b32_f16 v6, v8, v40
	v_pack_b32_f16 v14, v9, v41
	ds_write2_b32 v13, v6, v14 offset0:16 offset1:24
	v_pack_b32_f16 v6, v10, v39
	ds_write_b32 v13, v6 offset:128
	s_waitcnt lgkmcnt(0)
	; wave barrier
	s_waitcnt lgkmcnt(0)
	ds_read2_b32 v[15:16], v33 offset1:56
	ds_read2_b32 v[13:14], v33 offset0:112 offset1:200
	ds_read2_b32 v[31:32], v17 offset0:144 offset1:200
	ds_read2_b32 v[21:22], v12 offset1:88
	ds_read2_b32 v[29:30], v18 offset0:32 offset1:88
	ds_read2_b32 v[19:20], v18 offset0:144 offset1:232
	;; [unrolled: 1-line block ×3, first 2 shown]
	ds_read2_b32 v[25:26], v17 offset1:56
	ds_read2_b32 v[23:24], v12 offset0:144 offset1:200
	ds_read2_b32 v[17:18], v11 offset0:32 offset1:88
	ds_read_b32 v46, v33 offset:5248
                                        ; implicit-def: $vgpr44
                                        ; implicit-def: $vgpr45
                                        ; implicit-def: $vgpr43
	s_and_saveexec_b64 s[2:3], vcc
	s_cbranch_execz .LBB0_31
; %bb.30:
	v_add_u32_e32 v5, 0x880, v33
	v_add_u32_e32 v6, 0xf00, v33
	ds_read2_b32 v[7:8], v42 offset0:40 offset1:240
	ds_read2_b32 v[9:10], v5 offset0:24 offset1:224
	;; [unrolled: 1-line block ×3, first 2 shown]
	ds_read_b32 v45, v33 offset:5472
	s_waitcnt lgkmcnt(3)
	v_lshrrev_b32_e32 v38, 16, v7
	v_lshrrev_b32_e32 v40, 16, v8
	s_waitcnt lgkmcnt(2)
	v_lshrrev_b32_e32 v41, 16, v9
	v_lshrrev_b32_e32 v39, 16, v10
	;; [unrolled: 3-line block ×3, first 2 shown]
	s_waitcnt lgkmcnt(0)
	v_lshrrev_b32_e32 v44, 16, v45
.LBB0_31:
	s_or_b64 exec, exec, s[2:3]
	v_subrev_u32_e32 v11, 40, v0
	v_cmp_gt_u32_e64 s[2:3], 40, v0
	v_cndmask_b32_e64 v42, v11, v0, s[2:3]
	v_mul_i32_i24_e32 v11, 6, v42
	v_mov_b32_e32 v12, 0
	v_lshlrev_b64 v[47:48], 2, v[11:12]
	v_mov_b32_e32 v11, s9
	v_add_co_u32_e64 v51, s[2:3], s8, v47
	v_addc_co_u32_e64 v52, s[2:3], v11, v48, s[2:3]
	global_load_dwordx4 v[47:50], v[51:52], off offset:152
	s_waitcnt lgkmcnt(9)
	v_lshrrev_b32_e32 v63, 16, v14
	s_waitcnt lgkmcnt(8)
	v_lshrrev_b32_e32 v64, 16, v31
	;; [unrolled: 2-line block ×6, first 2 shown]
	s_movk_i32 s4, 0xcd
	s_waitcnt lgkmcnt(3)
	v_lshrrev_b32_e32 v69, 16, v25
	v_lshrrev_b32_e32 v70, 16, v32
	s_waitcnt lgkmcnt(2)
	v_lshrrev_b32_e32 v53, 16, v23
	v_lshrrev_b32_e32 v54, 16, v30
	;; [unrolled: 3-line block ×3, first 2 shown]
	v_lshrrev_b32_e32 v57, 16, v26
	v_lshrrev_b32_e32 v58, 16, v21
	;; [unrolled: 1-line block ×5, first 2 shown]
	s_waitcnt lgkmcnt(0)
	v_lshrrev_b32_e32 v62, 16, v46
	s_movk_i32 s10, 0x2b26
	s_movk_i32 s5, 0x3b00
	s_mov_b32 s7, 0xbcab
	s_movk_i32 s6, 0x39e0
	s_mov_b32 s14, 0xb9e0
	;; [unrolled: 2-line block ×3, first 2 shown]
	s_movk_i32 s11, 0x370e
	v_cmp_lt_u32_e64 s[2:3], 39, v0
	v_lshlrev_b32_e32 v42, 2, v42
	s_waitcnt vmcnt(0)
	v_mul_f16_sdwa v11, v47, v63 dst_sel:DWORD dst_unused:UNUSED_PAD src0_sel:WORD_1 src1_sel:DWORD
	v_fma_f16 v71, v47, v14, -v11
	v_mul_f16_sdwa v11, v47, v14 dst_sel:DWORD dst_unused:UNUSED_PAD src0_sel:WORD_1 src1_sel:DWORD
	v_fma_f16 v63, v47, v63, v11
	v_mul_f16_sdwa v11, v48, v64 dst_sel:DWORD dst_unused:UNUSED_PAD src0_sel:WORD_1 src1_sel:DWORD
	v_fma_f16 v72, v48, v31, -v11
	v_mul_f16_sdwa v11, v48, v31 dst_sel:DWORD dst_unused:UNUSED_PAD src0_sel:WORD_1 src1_sel:DWORD
	v_fma_f16 v31, v48, v64, v11
	global_load_dwordx2 v[47:48], v[51:52], off offset:168
	v_mul_f16_sdwa v11, v49, v65 dst_sel:DWORD dst_unused:UNUSED_PAD src0_sel:WORD_1 src1_sel:DWORD
	v_fma_f16 v64, v49, v22, -v11
	v_mul_f16_sdwa v11, v49, v22 dst_sel:DWORD dst_unused:UNUSED_PAD src0_sel:WORD_1 src1_sel:DWORD
	v_fma_f16 v65, v49, v65, v11
	v_mul_f16_sdwa v11, v50, v66 dst_sel:DWORD dst_unused:UNUSED_PAD src0_sel:WORD_1 src1_sel:DWORD
	v_fma_f16 v73, v50, v29, -v11
	v_mul_f16_sdwa v11, v50, v29 dst_sel:DWORD dst_unused:UNUSED_PAD src0_sel:WORD_1 src1_sel:DWORD
	v_fma_f16 v66, v50, v66, v11
	s_waitcnt vmcnt(0)
	v_mul_f16_sdwa v11, v47, v67 dst_sel:DWORD dst_unused:UNUSED_PAD src0_sel:WORD_1 src1_sel:DWORD
	v_fma_f16 v51, v47, v20, -v11
	v_mul_f16_sdwa v11, v47, v20 dst_sel:DWORD dst_unused:UNUSED_PAD src0_sel:WORD_1 src1_sel:DWORD
	v_fma_f16 v52, v47, v67, v11
	v_mul_f16_sdwa v11, v48, v68 dst_sel:DWORD dst_unused:UNUSED_PAD src0_sel:WORD_1 src1_sel:DWORD
	v_fma_f16 v67, v48, v27, -v11
	v_mul_f16_sdwa v11, v48, v27 dst_sel:DWORD dst_unused:UNUSED_PAD src0_sel:WORD_1 src1_sel:DWORD
	v_fma_f16 v68, v48, v68, v11
	v_mul_lo_u16_sdwa v11, v36, s4 dst_sel:DWORD dst_unused:UNUSED_PAD src0_sel:BYTE_0 src1_sel:DWORD
	v_lshrrev_b16_e32 v11, 13, v11
	v_mul_lo_u16_e32 v14, 40, v11
	v_sub_u16_e32 v14, v36, v14
	v_mov_b32_e32 v20, 6
	v_mul_u32_u24_sdwa v22, v14, v20 dst_sel:DWORD dst_unused:UNUSED_PAD src0_sel:BYTE_0 src1_sel:DWORD
	v_lshlrev_b32_e32 v22, 2, v22
	global_load_dwordx4 v[47:50], v22, s[8:9] offset:152
	v_mul_u32_u24_e32 v11, 0x460, v11
	s_waitcnt vmcnt(0)
	v_mul_f16_sdwa v27, v47, v69 dst_sel:DWORD dst_unused:UNUSED_PAD src0_sel:WORD_1 src1_sel:DWORD
	v_fma_f16 v74, v47, v25, -v27
	v_mul_f16_sdwa v25, v47, v25 dst_sel:DWORD dst_unused:UNUSED_PAD src0_sel:WORD_1 src1_sel:DWORD
	v_mul_f16_sdwa v27, v48, v70 dst_sel:DWORD dst_unused:UNUSED_PAD src0_sel:WORD_1 src1_sel:DWORD
	v_fma_f16 v25, v47, v69, v25
	v_fma_f16 v47, v48, v32, -v27
	v_mul_f16_sdwa v27, v48, v32 dst_sel:DWORD dst_unused:UNUSED_PAD src0_sel:WORD_1 src1_sel:DWORD
	v_fma_f16 v32, v48, v70, v27
	v_mul_f16_sdwa v27, v53, v49 dst_sel:DWORD dst_unused:UNUSED_PAD src0_sel:DWORD src1_sel:WORD_1
	v_fma_f16 v48, v23, v49, -v27
	v_mul_f16_sdwa v23, v23, v49 dst_sel:DWORD dst_unused:UNUSED_PAD src0_sel:DWORD src1_sel:WORD_1
	v_fma_f16 v49, v53, v49, v23
	v_mul_f16_sdwa v23, v54, v50 dst_sel:DWORD dst_unused:UNUSED_PAD src0_sel:DWORD src1_sel:WORD_1
	v_fma_f16 v53, v30, v50, -v23
	v_mul_f16_sdwa v23, v30, v50 dst_sel:DWORD dst_unused:UNUSED_PAD src0_sel:DWORD src1_sel:WORD_1
	v_fma_f16 v50, v54, v50, v23
	global_load_dwordx2 v[22:23], v22, s[8:9] offset:168
	s_waitcnt vmcnt(0)
	v_mul_f16_sdwa v27, v55, v22 dst_sel:DWORD dst_unused:UNUSED_PAD src0_sel:DWORD src1_sel:WORD_1
	v_fma_f16 v54, v17, v22, -v27
	v_mul_f16_sdwa v17, v17, v22 dst_sel:DWORD dst_unused:UNUSED_PAD src0_sel:DWORD src1_sel:WORD_1
	v_fma_f16 v22, v55, v22, v17
	v_mul_f16_sdwa v17, v56, v23 dst_sel:DWORD dst_unused:UNUSED_PAD src0_sel:DWORD src1_sel:WORD_1
	v_fma_f16 v55, v28, v23, -v17
	v_mul_f16_sdwa v17, v28, v23 dst_sel:DWORD dst_unused:UNUSED_PAD src0_sel:DWORD src1_sel:WORD_1
	v_fma_f16 v23, v56, v23, v17
	v_mul_lo_u16_sdwa v17, v35, s4 dst_sel:DWORD dst_unused:UNUSED_PAD src0_sel:BYTE_0 src1_sel:DWORD
	v_lshrrev_b16_e32 v17, 13, v17
	v_mul_lo_u16_e32 v27, 40, v17
	v_sub_u16_e32 v56, v35, v27
	v_mul_u32_u24_sdwa v20, v56, v20 dst_sel:DWORD dst_unused:UNUSED_PAD src0_sel:BYTE_0 src1_sel:DWORD
	v_lshlrev_b32_e32 v20, 2, v20
	global_load_dwordx4 v[27:30], v20, s[8:9] offset:152
	s_waitcnt vmcnt(0)
	v_mul_f16_sdwa v69, v57, v27 dst_sel:DWORD dst_unused:UNUSED_PAD src0_sel:DWORD src1_sel:WORD_1
	v_fma_f16 v69, v26, v27, -v69
	v_mul_f16_sdwa v26, v26, v27 dst_sel:DWORD dst_unused:UNUSED_PAD src0_sel:DWORD src1_sel:WORD_1
	v_fma_f16 v26, v57, v27, v26
	v_mul_f16_sdwa v27, v58, v28 dst_sel:DWORD dst_unused:UNUSED_PAD src0_sel:DWORD src1_sel:WORD_1
	v_fma_f16 v27, v21, v28, -v27
	v_mul_f16_sdwa v21, v21, v28 dst_sel:DWORD dst_unused:UNUSED_PAD src0_sel:DWORD src1_sel:WORD_1
	v_fma_f16 v21, v58, v28, v21
	v_mul_f16_sdwa v28, v59, v29 dst_sel:DWORD dst_unused:UNUSED_PAD src0_sel:DWORD src1_sel:WORD_1
	v_fma_f16 v28, v24, v29, -v28
	v_mul_f16_sdwa v24, v24, v29 dst_sel:DWORD dst_unused:UNUSED_PAD src0_sel:DWORD src1_sel:WORD_1
	v_fma_f16 v24, v59, v29, v24
	v_mul_f16_sdwa v29, v60, v30 dst_sel:DWORD dst_unused:UNUSED_PAD src0_sel:DWORD src1_sel:WORD_1
	v_fma_f16 v29, v19, v30, -v29
	v_mul_f16_sdwa v19, v19, v30 dst_sel:DWORD dst_unused:UNUSED_PAD src0_sel:DWORD src1_sel:WORD_1
	v_fma_f16 v30, v60, v30, v19
	global_load_dwordx2 v[19:20], v20, s[8:9] offset:168
	v_add_f16_e32 v58, v63, v68
	v_sub_f16_e32 v59, v71, v67
	v_sub_f16_e32 v60, v63, v68
	v_add_f16_e32 v63, v65, v66
	v_sub_f16_e32 v65, v66, v65
	s_waitcnt lgkmcnt(0)
	; wave barrier
	s_waitcnt vmcnt(0)
	v_mul_f16_sdwa v57, v61, v19 dst_sel:DWORD dst_unused:UNUSED_PAD src0_sel:DWORD src1_sel:WORD_1
	v_fma_f16 v57, v18, v19, -v57
	v_mul_f16_sdwa v18, v18, v19 dst_sel:DWORD dst_unused:UNUSED_PAD src0_sel:DWORD src1_sel:WORD_1
	v_fma_f16 v18, v61, v19, v18
	v_mul_f16_sdwa v19, v62, v20 dst_sel:DWORD dst_unused:UNUSED_PAD src0_sel:DWORD src1_sel:WORD_1
	v_fma_f16 v19, v46, v20, -v19
	v_mul_f16_sdwa v46, v46, v20 dst_sel:DWORD dst_unused:UNUSED_PAD src0_sel:DWORD src1_sel:WORD_1
	v_fma_f16 v20, v62, v20, v46
	v_add_f16_e32 v46, v71, v67
	v_add_f16_e32 v61, v72, v51
	;; [unrolled: 1-line block ×3, first 2 shown]
	v_sub_f16_e32 v51, v72, v51
	v_sub_f16_e32 v31, v31, v52
	v_add_f16_e32 v52, v64, v73
	v_sub_f16_e32 v64, v73, v64
	v_add_f16_e32 v66, v61, v46
	v_add_f16_e32 v67, v62, v58
	v_sub_f16_e32 v68, v61, v46
	v_sub_f16_e32 v70, v62, v58
	;; [unrolled: 1-line block ×6, first 2 shown]
	v_add_f16_e32 v71, v64, v51
	v_add_f16_e32 v72, v65, v31
	v_sub_f16_e32 v73, v64, v51
	v_sub_f16_e32 v75, v65, v31
	v_sub_f16_e32 v51, v51, v59
	v_sub_f16_e32 v31, v31, v60
	v_add_f16_e32 v52, v52, v66
	v_add_f16_e32 v63, v63, v67
	v_sub_f16_e32 v64, v59, v64
	v_sub_f16_e32 v65, v60, v65
	v_add_f16_e32 v59, v71, v59
	v_add_f16_e32 v60, v72, v60
	;; [unrolled: 1-line block ×3, first 2 shown]
	v_add_f16_sdwa v15, v15, v63 dst_sel:DWORD dst_unused:UNUSED_PAD src0_sel:WORD_1 src1_sel:DWORD
	v_mul_f16_e32 v46, 0x3a52, v46
	v_mul_f16_e32 v58, 0x3a52, v58
	;; [unrolled: 1-line block ×8, first 2 shown]
	v_fma_f16 v52, v52, s7, v66
	v_fma_f16 v63, v63, s7, v15
	;; [unrolled: 1-line block ×4, first 2 shown]
	v_fma_f16 v67, v68, s6, -v67
	v_fma_f16 v71, v70, s6, -v71
	;; [unrolled: 1-line block ×4, first 2 shown]
	v_fma_f16 v68, v64, s15, v72
	v_fma_f16 v70, v65, s15, v73
	v_fma_f16 v51, v51, s5, -v72
	v_fma_f16 v31, v31, s5, -v73
	;; [unrolled: 1-line block ×4, first 2 shown]
	v_add_f16_e32 v61, v61, v52
	v_add_f16_e32 v62, v62, v63
	;; [unrolled: 1-line block ×6, first 2 shown]
	v_fma_f16 v58, v59, s11, v68
	v_fma_f16 v63, v60, s11, v70
	;; [unrolled: 1-line block ×6, first 2 shown]
	v_add_f16_e32 v64, v63, v61
	v_sub_f16_e32 v65, v62, v58
	v_add_f16_e32 v68, v60, v46
	v_sub_f16_e32 v70, v52, v59
	v_sub_f16_e32 v46, v46, v60
	v_add_f16_e32 v52, v59, v52
	v_sub_f16_e32 v59, v61, v63
	v_add_f16_e32 v58, v58, v62
	v_add_f16_e32 v60, v74, v55
	;; [unrolled: 1-line block ×3, first 2 shown]
	v_sub_f16_e32 v23, v25, v23
	v_add_f16_e32 v25, v47, v54
	v_add_f16_e32 v62, v32, v22
	v_sub_f16_e32 v55, v74, v55
	v_sub_f16_e32 v47, v47, v54
	v_sub_f16_e32 v22, v32, v22
	v_add_f16_e32 v32, v48, v53
	v_add_f16_e32 v54, v49, v50
	v_sub_f16_e32 v48, v53, v48
	v_sub_f16_e32 v49, v50, v49
	v_add_f16_e32 v50, v25, v60
	v_add_f16_e32 v53, v62, v61
	v_sub_f16_e32 v72, v67, v31
	v_add_f16_e32 v73, v51, v71
	v_add_f16_e32 v31, v31, v67
	v_sub_f16_e32 v51, v71, v51
	v_sub_f16_e32 v63, v25, v60
	;; [unrolled: 1-line block ×7, first 2 shown]
	v_add_f16_e32 v71, v48, v47
	v_add_f16_e32 v74, v49, v22
	v_sub_f16_e32 v75, v48, v47
	v_sub_f16_e32 v76, v49, v22
	;; [unrolled: 1-line block ×4, first 2 shown]
	v_add_f16_e32 v32, v32, v50
	v_add_f16_e32 v50, v54, v53
	v_sub_f16_e32 v48, v55, v48
	v_sub_f16_e32 v49, v23, v49
	v_add_f16_e32 v53, v71, v55
	v_add_f16_e32 v23, v74, v23
	;; [unrolled: 1-line block ×3, first 2 shown]
	v_add_f16_sdwa v16, v16, v50 dst_sel:DWORD dst_unused:UNUSED_PAD src0_sel:WORD_1 src1_sel:DWORD
	v_mul_f16_e32 v55, 0x3a52, v60
	v_mul_f16_e32 v60, 0x3a52, v61
	;; [unrolled: 1-line block ×8, first 2 shown]
	v_fma_f16 v32, v32, s7, v54
	v_fma_f16 v50, v50, s7, v16
	;; [unrolled: 1-line block ×4, first 2 shown]
	v_fma_f16 v61, v63, s6, -v61
	v_fma_f16 v71, v67, s6, -v71
	;; [unrolled: 1-line block ×4, first 2 shown]
	v_fma_f16 v63, v48, s15, v74
	v_fma_f16 v67, v49, s15, v75
	v_fma_f16 v22, v22, s5, -v75
	v_fma_f16 v48, v48, s16, -v76
	;; [unrolled: 1-line block ×4, first 2 shown]
	v_add_f16_e32 v25, v25, v32
	v_add_f16_e32 v62, v62, v50
	;; [unrolled: 1-line block ×6, first 2 shown]
	v_fma_f16 v55, v53, s11, v63
	v_fma_f16 v60, v23, s11, v67
	;; [unrolled: 1-line block ×6, first 2 shown]
	v_add_f16_e32 v49, v60, v25
	v_sub_f16_e32 v53, v62, v55
	v_add_f16_e32 v63, v23, v32
	v_sub_f16_e32 v67, v50, v48
	v_sub_f16_e32 v23, v32, v23
	v_add_f16_e32 v32, v48, v50
	v_sub_f16_e32 v25, v25, v60
	v_add_f16_e32 v48, v55, v62
	v_add_f16_e32 v50, v69, v19
	;; [unrolled: 1-line block ×3, first 2 shown]
	v_sub_f16_e32 v20, v26, v20
	v_add_f16_e32 v26, v27, v57
	v_add_f16_e32 v60, v21, v18
	v_sub_f16_e32 v19, v69, v19
	v_sub_f16_e32 v27, v27, v57
	;; [unrolled: 1-line block ×3, first 2 shown]
	v_add_f16_e32 v21, v28, v29
	v_add_f16_e32 v57, v24, v30
	v_sub_f16_e32 v28, v29, v28
	v_sub_f16_e32 v24, v30, v24
	v_add_f16_e32 v29, v26, v50
	v_add_f16_e32 v30, v60, v55
	v_sub_f16_e32 v74, v61, v22
	v_add_f16_e32 v75, v47, v71
	v_add_f16_e32 v22, v22, v61
	v_sub_f16_e32 v47, v71, v47
	v_sub_f16_e32 v61, v26, v50
	;; [unrolled: 1-line block ×7, first 2 shown]
	v_add_f16_e32 v69, v28, v27
	v_add_f16_e32 v71, v24, v18
	v_sub_f16_e32 v76, v28, v27
	v_sub_f16_e32 v77, v24, v18
	;; [unrolled: 1-line block ×3, first 2 shown]
	v_add_f16_e32 v21, v21, v29
	v_add_f16_e32 v29, v57, v30
	v_sub_f16_e32 v28, v19, v28
	v_sub_f16_e32 v24, v20, v24
	;; [unrolled: 1-line block ×3, first 2 shown]
	v_add_f16_e32 v19, v69, v19
	v_add_f16_e32 v20, v71, v20
	;; [unrolled: 1-line block ×3, first 2 shown]
	v_add_f16_sdwa v13, v13, v29 dst_sel:DWORD dst_unused:UNUSED_PAD src0_sel:WORD_1 src1_sel:DWORD
	v_mul_f16_e32 v50, 0x3a52, v50
	v_mul_f16_e32 v55, 0x3a52, v55
	;; [unrolled: 1-line block ×7, first 2 shown]
	v_fma_f16 v21, v21, s7, v30
	v_fma_f16 v29, v29, s7, v13
	v_fma_f16 v26, v26, s10, v50
	v_fma_f16 v60, v60, s10, v55
	v_fma_f16 v57, v61, s6, -v57
	v_fma_f16 v69, v62, s6, -v69
	;; [unrolled: 1-line block ×4, first 2 shown]
	v_fma_f16 v61, v28, s15, v71
	v_fma_f16 v27, v27, s5, -v71
	v_fma_f16 v28, v28, s16, -v77
	v_fma_f16 v62, v24, s15, v76
	v_add_f16_e32 v26, v26, v21
	v_add_f16_e32 v60, v60, v29
	;; [unrolled: 1-line block ×6, first 2 shown]
	v_fma_f16 v50, v19, s11, v61
	v_fma_f16 v27, v19, s11, v27
	;; [unrolled: 1-line block ×4, first 2 shown]
	v_sub_f16_e32 v62, v29, v19
	v_add_f16_e32 v19, v19, v29
	v_mov_b32_e32 v29, 0x460
	v_cndmask_b32_e64 v29, 0, v29, s[2:3]
	v_add3_u32 v29, 0, v29, v42
	v_pack_b32_f16 v15, v66, v15
	v_pack_b32_f16 v42, v64, v65
	ds_write2_b32 v29, v15, v42 offset1:40
	v_pack_b32_f16 v15, v68, v70
	v_pack_b32_f16 v42, v72, v73
	ds_write2_b32 v29, v15, v42 offset0:80 offset1:120
	v_pack_b32_f16 v15, v31, v51
	v_pack_b32_f16 v31, v46, v52
	ds_write2_b32 v29, v15, v31 offset0:160 offset1:200
	v_pack_b32_f16 v15, v59, v58
	ds_write_b32 v29, v15 offset:960
	v_mov_b32_e32 v15, 2
	v_lshlrev_b32_sdwa v14, v15, v14 dst_sel:DWORD dst_unused:UNUSED_PAD src0_sel:DWORD src1_sel:BYTE_0
	v_add3_u32 v11, 0, v11, v14
	v_pack_b32_f16 v14, v54, v16
	v_pack_b32_f16 v16, v49, v53
	ds_write2_b32 v11, v14, v16 offset1:40
	v_pack_b32_f16 v14, v63, v67
	v_pack_b32_f16 v16, v74, v75
	v_mul_f16_e32 v78, 0x3b00, v18
	ds_write2_b32 v11, v14, v16 offset0:80 offset1:120
	v_pack_b32_f16 v14, v22, v47
	v_pack_b32_f16 v16, v23, v32
	v_fma_f16 v18, v18, s5, -v76
	v_fma_f16 v24, v24, s16, -v78
	ds_write2_b32 v11, v14, v16 offset0:160 offset1:200
	v_pack_b32_f16 v14, v25, v48
	v_fma_f16 v18, v20, s11, v18
	v_fma_f16 v20, v20, s11, v24
	v_add_f16_e32 v24, v55, v26
	v_sub_f16_e32 v28, v60, v50
	ds_write_b32 v11, v14 offset:960
	v_mul_u32_u24_e32 v11, 0x460, v17
	v_lshlrev_b32_sdwa v14, v15, v56 dst_sel:DWORD dst_unused:UNUSED_PAD src0_sel:DWORD src1_sel:BYTE_0
	v_add_f16_e32 v61, v20, v21
	v_sub_f16_e32 v71, v57, v18
	v_add_f16_e32 v76, v27, v69
	v_add3_u32 v11, 0, v11, v14
	v_pack_b32_f16 v13, v30, v13
	v_pack_b32_f16 v14, v24, v28
	v_add_f16_e32 v18, v18, v57
	v_sub_f16_e32 v27, v69, v27
	v_sub_f16_e32 v20, v21, v20
	ds_write2_b32 v11, v13, v14 offset1:40
	v_pack_b32_f16 v13, v61, v62
	v_pack_b32_f16 v14, v71, v76
	v_sub_f16_e32 v21, v26, v55
	v_add_f16_e32 v26, v50, v60
	ds_write2_b32 v11, v13, v14 offset0:80 offset1:120
	v_pack_b32_f16 v13, v18, v27
	v_pack_b32_f16 v14, v20, v19
	ds_write2_b32 v11, v13, v14 offset0:160 offset1:200
	v_pack_b32_f16 v13, v21, v26
	ds_write_b32 v11, v13 offset:960
	s_and_saveexec_b64 s[2:3], vcc
	s_cbranch_execz .LBB0_33
; %bb.32:
	v_mul_lo_u16_sdwa v11, v34, s4 dst_sel:DWORD dst_unused:UNUSED_PAD src0_sel:BYTE_0 src1_sel:DWORD
	v_lshrrev_b16_e32 v11, 13, v11
	v_mul_lo_u16_e32 v11, 40, v11
	v_sub_u16_e32 v11, v34, v11
	v_and_b32_e32 v11, 0xff, v11
	v_mul_u32_u24_e32 v13, 6, v11
	v_lshlrev_b32_e32 v19, 2, v13
	global_load_dwordx4 v[13:16], v19, s[8:9] offset:152
	global_load_dwordx2 v[17:18], v19, s[8:9] offset:168
	v_lshl_add_u32 v11, v11, 2, 0
	s_waitcnt vmcnt(1)
	v_mul_f16_sdwa v19, v40, v13 dst_sel:DWORD dst_unused:UNUSED_PAD src0_sel:DWORD src1_sel:WORD_1
	s_waitcnt vmcnt(0)
	v_mul_f16_sdwa v20, v44, v18 dst_sel:DWORD dst_unused:UNUSED_PAD src0_sel:DWORD src1_sel:WORD_1
	v_mul_f16_sdwa v23, v41, v14 dst_sel:DWORD dst_unused:UNUSED_PAD src0_sel:DWORD src1_sel:WORD_1
	;; [unrolled: 1-line block ×11, first 2 shown]
	v_fma_f16 v8, v8, v13, -v19
	v_fma_f16 v19, v45, v18, -v20
	;; [unrolled: 1-line block ×4, first 2 shown]
	v_fma_f16 v18, v44, v18, v25
	v_fma_f16 v13, v40, v13, v26
	;; [unrolled: 1-line block ×4, first 2 shown]
	v_fma_f16 v5, v5, v16, -v21
	v_fma_f16 v10, v10, v15, -v22
	v_fma_f16 v15, v39, v15, v27
	v_fma_f16 v16, v37, v16, v28
	v_sub_f16_e32 v20, v8, v19
	v_sub_f16_e32 v22, v9, v6
	v_add_f16_e32 v23, v13, v18
	v_add_f16_e32 v25, v14, v17
	v_add_f16_e32 v8, v8, v19
	v_add_f16_e32 v6, v9, v6
	v_sub_f16_e32 v21, v5, v10
	v_add_f16_e32 v24, v15, v16
	v_add_f16_e32 v5, v10, v5
	v_sub_f16_e32 v9, v13, v18
	v_sub_f16_e32 v10, v16, v15
	;; [unrolled: 1-line block ×3, first 2 shown]
	v_add_f16_e32 v19, v25, v23
	v_add_f16_e32 v27, v6, v8
	v_sub_f16_e32 v14, v20, v21
	v_sub_f16_e32 v15, v21, v22
	v_add_f16_e32 v16, v21, v22
	v_sub_f16_e32 v17, v23, v24
	v_sub_f16_e32 v18, v24, v25
	;; [unrolled: 1-line block ×6, first 2 shown]
	v_add_f16_e32 v10, v10, v13
	v_sub_f16_e32 v22, v22, v20
	v_add_f16_e32 v19, v24, v19
	v_add_f16_e32 v5, v5, v27
	v_sub_f16_e32 v23, v25, v23
	v_sub_f16_e32 v6, v6, v8
	;; [unrolled: 1-line block ×3, first 2 shown]
	v_mul_f16_e32 v13, 0xb846, v15
	v_add_f16_e32 v15, v16, v20
	v_mul_f16_e32 v16, 0x3a52, v17
	v_mul_f16_e32 v17, 0x2b26, v18
	;; [unrolled: 1-line block ×5, first 2 shown]
	v_add_f16_e32 v9, v10, v9
	v_mul_f16_e32 v10, 0x3b00, v22
	v_add_f16_e32 v29, v38, v19
	v_add_f16_e32 v7, v7, v5
	v_mul_f16_e32 v25, 0x3b00, v8
	v_fma_f16 v27, v14, s15, v13
	v_fma_f16 v18, v18, s10, v16
	;; [unrolled: 1-line block ×4, first 2 shown]
	v_fma_f16 v10, v14, s16, -v10
	v_fma_f16 v14, v23, s14, -v16
	;; [unrolled: 1-line block ×3, first 2 shown]
	v_fma_f16 v19, v19, s7, v29
	v_fma_f16 v5, v5, s7, v7
	v_fma_f16 v17, v23, s6, -v17
	v_fma_f16 v13, v22, s5, -v13
	;; [unrolled: 1-line block ×5, first 2 shown]
	v_fma_f16 v25, v15, s11, v27
	v_fma_f16 v27, v9, s11, v30
	;; [unrolled: 1-line block ×3, first 2 shown]
	v_add_f16_e32 v18, v18, v19
	v_add_f16_e32 v26, v26, v5
	;; [unrolled: 1-line block ×5, first 2 shown]
	v_fma_f16 v13, v15, s11, v13
	v_fma_f16 v8, v9, s11, v8
	v_add_f16_e32 v5, v6, v5
	v_fma_f16 v20, v9, s11, v20
	v_add_f16_e32 v31, v10, v14
	v_sub_f16_e32 v15, v17, v13
	v_add_f16_e32 v6, v8, v5
	v_add_f16_e32 v9, v13, v17
	v_sub_f16_e32 v5, v5, v8
	v_sub_f16_e32 v8, v14, v10
	;; [unrolled: 1-line block ×3, first 2 shown]
	v_add_f16_e32 v14, v27, v26
	v_add_f16_e32 v10, v20, v16
	v_pack_b32_f16 v7, v7, v29
	v_pack_b32_f16 v13, v14, v13
	v_add_u32_e32 v14, 0x1000, v11
	v_sub_f16_e32 v32, v16, v20
	ds_write2_b32 v14, v7, v13 offset0:96 offset1:136
	v_pack_b32_f16 v7, v10, v8
	v_pack_b32_f16 v5, v5, v9
	v_add_f16_e32 v28, v25, v18
	v_sub_f16_e32 v30, v26, v27
	ds_write2_b32 v14, v7, v5 offset0:176 offset1:216
	v_pack_b32_f16 v5, v6, v15
	v_pack_b32_f16 v6, v32, v31
	v_add_u32_e32 v7, 0x1400, v11
	ds_write2_b32 v7, v5, v6 offset1:40
	v_pack_b32_f16 v5, v30, v28
	ds_write_b32 v11, v5 offset:5440
.LBB0_33:
	s_or_b64 exec, exec, s[2:3]
	v_mov_b32_e32 v5, v12
	v_lshlrev_b64 v[4:5], 2, v[4:5]
	v_mov_b32_e32 v56, s9
	v_add_co_u32_e32 v4, vcc, s8, v4
	v_addc_co_u32_e32 v5, vcc, v56, v5, vcc
	s_waitcnt lgkmcnt(0)
	; wave barrier
	s_waitcnt lgkmcnt(0)
	global_load_dwordx4 v[13:16], v[4:5], off offset:1112
	v_lshlrev_b32_e32 v11, 2, v36
	v_lshlrev_b64 v[6:7], 2, v[11:12]
	v_lshlrev_b32_e32 v11, 2, v35
	v_add_co_u32_e32 v6, vcc, s8, v6
	v_addc_co_u32_e32 v7, vcc, v56, v7, vcc
	global_load_dwordx4 v[17:20], v[6:7], off offset:1112
	v_lshlrev_b64 v[9:10], 2, v[11:12]
	ds_read2_b32 v[29:30], v33 offset1:56
	v_add_co_u32_e32 v9, vcc, s8, v9
	v_addc_co_u32_e32 v10, vcc, v56, v10, vcc
	v_add_u32_e32 v4, 0x200, v33
	v_add_u32_e32 v5, 0x800, v33
	ds_read2_b32 v[31:32], v33 offset0:112 offset1:168
	ds_read_b32 v59, v33 offset:5376
	ds_read2_b32 v[36:37], v4 offset0:96 offset1:152
	ds_read2_b32 v[38:39], v5 offset0:48 offset1:104
	global_load_dwordx4 v[21:24], v[9:10], off offset:1112
	v_lshlrev_b32_e32 v11, 2, v34
	v_lshlrev_b64 v[9:10], 2, v[11:12]
	v_add_u32_e32 v6, 0xc00, v33
	v_add_co_u32_e32 v9, vcc, s8, v9
	v_addc_co_u32_e32 v10, vcc, v56, v10, vcc
	v_add_u32_e32 v57, 0x1000, v33
	v_add_u32_e32 v8, 0x400, v33
	;; [unrolled: 1-line block ×4, first 2 shown]
	ds_read2_b32 v[40:41], v6 offset0:16 offset1:72
	ds_read2_b32 v[42:43], v57 offset0:96 offset1:152
	;; [unrolled: 1-line block ×8, first 2 shown]
	global_load_dwordx4 v[25:28], v[9:10], off offset:1112
	v_lshlrev_b32_e32 v11, 2, v1
	v_lshlrev_b64 v[9:10], 2, v[11:12]
	s_waitcnt lgkmcnt(9)
	v_lshrrev_b32_e32 v76, 16, v37
	v_add_co_u32_e32 v9, vcc, s8, v9
	v_addc_co_u32_e32 v10, vcc, v56, v10, vcc
	global_load_dwordx4 v[9:12], v[9:10], off offset:1112
	s_waitcnt lgkmcnt(8)
	v_lshrrev_b32_e32 v77, 16, v38
	s_waitcnt lgkmcnt(6)
	v_lshrrev_b32_e32 v61, 16, v42
	;; [unrolled: 2-line block ×3, first 2 shown]
	v_lshrrev_b32_e32 v63, 16, v39
	s_waitcnt lgkmcnt(4)
	v_lshrrev_b32_e32 v64, 16, v46
	v_lshrrev_b32_e32 v65, 16, v43
	;; [unrolled: 1-line block ×3, first 2 shown]
	s_waitcnt lgkmcnt(3)
	v_lshrrev_b32_e32 v56, 16, v48
	v_lshrrev_b32_e32 v67, 16, v47
	s_waitcnt lgkmcnt(2)
	v_lshrrev_b32_e32 v68, 16, v50
	s_waitcnt lgkmcnt(1)
	v_lshrrev_b32_e32 v69, 16, v52
	v_lshrrev_b32_e32 v70, 16, v49
	s_waitcnt lgkmcnt(0)
	v_lshrrev_b32_e32 v71, 16, v54
	v_lshrrev_b32_e32 v72, 16, v51
	;; [unrolled: 1-line block ×4, first 2 shown]
	s_movk_i32 s3, 0x3b9c
	s_mov_b32 s5, 0xbb9c
	s_movk_i32 s2, 0x38b4
	s_mov_b32 s6, 0xb8b4
	s_movk_i32 s4, 0x34f2
	v_lshrrev_b32_e32 v1, 16, v29
	v_lshrrev_b32_e32 v34, 16, v30
	;; [unrolled: 1-line block ×5, first 2 shown]
	s_waitcnt lgkmcnt(0)
	; wave barrier
	s_waitcnt vmcnt(4)
	v_mul_f16_sdwa v78, v13, v76 dst_sel:DWORD dst_unused:UNUSED_PAD src0_sel:WORD_1 src1_sel:DWORD
	v_mul_f16_sdwa v79, v13, v37 dst_sel:DWORD dst_unused:UNUSED_PAD src0_sel:WORD_1 src1_sel:DWORD
	;; [unrolled: 1-line block ×3, first 2 shown]
	v_fma_f16 v37, v13, v37, -v78
	v_fma_f16 v13, v13, v76, v79
	v_fma_f16 v76, v14, v38, -v80
	v_mul_f16_sdwa v38, v14, v38 dst_sel:DWORD dst_unused:UNUSED_PAD src0_sel:WORD_1 src1_sel:DWORD
	v_fma_f16 v14, v14, v77, v38
	v_lshrrev_b32_e32 v38, 16, v41
	v_mul_f16_sdwa v77, v15, v38 dst_sel:DWORD dst_unused:UNUSED_PAD src0_sel:WORD_1 src1_sel:DWORD
	v_fma_f16 v77, v15, v41, -v77
	v_mul_f16_sdwa v41, v15, v41 dst_sel:DWORD dst_unused:UNUSED_PAD src0_sel:WORD_1 src1_sel:DWORD
	v_fma_f16 v15, v15, v38, v41
	v_mul_f16_sdwa v38, v42, v16 dst_sel:DWORD dst_unused:UNUSED_PAD src0_sel:DWORD src1_sel:WORD_1
	v_fma_f16 v38, v61, v16, v38
	v_mul_f16_sdwa v41, v61, v16 dst_sel:DWORD dst_unused:UNUSED_PAD src0_sel:DWORD src1_sel:WORD_1
	s_waitcnt vmcnt(3)
	v_mul_f16_sdwa v61, v62, v17 dst_sel:DWORD dst_unused:UNUSED_PAD src0_sel:DWORD src1_sel:WORD_1
	v_fma_f16 v61, v44, v17, -v61
	v_mul_f16_sdwa v44, v44, v17 dst_sel:DWORD dst_unused:UNUSED_PAD src0_sel:DWORD src1_sel:WORD_1
	v_fma_f16 v17, v62, v17, v44
	v_mul_f16_sdwa v44, v63, v18 dst_sel:DWORD dst_unused:UNUSED_PAD src0_sel:DWORD src1_sel:WORD_1
	v_fma_f16 v44, v39, v18, -v44
	v_mul_f16_sdwa v39, v39, v18 dst_sel:DWORD dst_unused:UNUSED_PAD src0_sel:DWORD src1_sel:WORD_1
	v_fma_f16 v18, v63, v18, v39
	v_mul_f16_sdwa v39, v64, v19 dst_sel:DWORD dst_unused:UNUSED_PAD src0_sel:DWORD src1_sel:WORD_1
	v_fma_f16 v39, v46, v19, -v39
	v_mul_f16_sdwa v46, v46, v19 dst_sel:DWORD dst_unused:UNUSED_PAD src0_sel:DWORD src1_sel:WORD_1
	v_fma_f16 v19, v64, v19, v46
	v_mul_f16_sdwa v46, v65, v20 dst_sel:DWORD dst_unused:UNUSED_PAD src0_sel:DWORD src1_sel:WORD_1
	v_fma_f16 v46, v43, v20, -v46
	v_mul_f16_sdwa v43, v43, v20 dst_sel:DWORD dst_unused:UNUSED_PAD src0_sel:DWORD src1_sel:WORD_1
	v_fma_f16 v20, v65, v20, v43
	s_waitcnt vmcnt(2)
	v_mul_f16_sdwa v43, v66, v21 dst_sel:DWORD dst_unused:UNUSED_PAD src0_sel:DWORD src1_sel:WORD_1
	v_fma_f16 v43, v45, v21, -v43
	v_mul_f16_sdwa v45, v45, v21 dst_sel:DWORD dst_unused:UNUSED_PAD src0_sel:DWORD src1_sel:WORD_1
	v_fma_f16 v21, v66, v21, v45
	v_mul_f16_sdwa v45, v56, v22 dst_sel:DWORD dst_unused:UNUSED_PAD src0_sel:DWORD src1_sel:WORD_1
	v_fma_f16 v45, v48, v22, -v45
	v_mul_f16_sdwa v48, v48, v22 dst_sel:DWORD dst_unused:UNUSED_PAD src0_sel:DWORD src1_sel:WORD_1
	v_fma_f16 v22, v56, v22, v48
	v_mul_f16_sdwa v48, v67, v23 dst_sel:DWORD dst_unused:UNUSED_PAD src0_sel:DWORD src1_sel:WORD_1
	v_fma_f16 v48, v47, v23, -v48
	v_mul_f16_sdwa v47, v47, v23 dst_sel:DWORD dst_unused:UNUSED_PAD src0_sel:DWORD src1_sel:WORD_1
	v_fma_f16 v23, v67, v23, v47
	v_mul_f16_sdwa v47, v68, v24 dst_sel:DWORD dst_unused:UNUSED_PAD src0_sel:DWORD src1_sel:WORD_1
	v_fma_f16 v47, v50, v24, -v47
	v_mul_f16_sdwa v50, v50, v24 dst_sel:DWORD dst_unused:UNUSED_PAD src0_sel:DWORD src1_sel:WORD_1
	v_fma_f16 v24, v68, v24, v50
	;; [unrolled: 17-line block ×3, first 2 shown]
	s_waitcnt vmcnt(0)
	v_mul_f16_sdwa v51, v74, v9 dst_sel:DWORD dst_unused:UNUSED_PAD src0_sel:DWORD src1_sel:WORD_1
	v_fma_f16 v51, v53, v9, -v51
	v_mul_f16_sdwa v53, v53, v9 dst_sel:DWORD dst_unused:UNUSED_PAD src0_sel:DWORD src1_sel:WORD_1
	v_fma_f16 v9, v74, v9, v53
	v_mul_f16_sdwa v53, v75, v10 dst_sel:DWORD dst_unused:UNUSED_PAD src0_sel:DWORD src1_sel:WORD_1
	v_fma_f16 v16, v42, v16, -v41
	v_lshrrev_b32_e32 v41, 16, v55
	v_fma_f16 v53, v40, v10, -v53
	v_mul_f16_sdwa v40, v40, v10 dst_sel:DWORD dst_unused:UNUSED_PAD src0_sel:DWORD src1_sel:WORD_1
	v_fma_f16 v10, v75, v10, v40
	v_mul_f16_sdwa v40, v41, v11 dst_sel:DWORD dst_unused:UNUSED_PAD src0_sel:DWORD src1_sel:WORD_1
	v_lshrrev_b32_e32 v42, 16, v59
	v_fma_f16 v40, v55, v11, -v40
	v_mul_f16_sdwa v55, v55, v11 dst_sel:DWORD dst_unused:UNUSED_PAD src0_sel:DWORD src1_sel:WORD_1
	v_fma_f16 v11, v41, v11, v55
	v_mul_f16_sdwa v41, v42, v12 dst_sel:DWORD dst_unused:UNUSED_PAD src0_sel:DWORD src1_sel:WORD_1
	v_mul_f16_sdwa v55, v59, v12 dst_sel:DWORD dst_unused:UNUSED_PAD src0_sel:DWORD src1_sel:WORD_1
	v_fma_f16 v41, v59, v12, -v41
	v_fma_f16 v12, v42, v12, v55
	v_add_f16_e32 v55, v76, v77
	v_fma_f16 v55, v55, -0.5, v29
	v_sub_f16_e32 v56, v13, v38
	v_fma_f16 v59, v56, s3, v55
	v_sub_f16_e32 v62, v14, v15
	v_sub_f16_e32 v63, v37, v76
	;; [unrolled: 1-line block ×3, first 2 shown]
	v_fma_f16 v55, v56, s5, v55
	v_fma_f16 v59, v62, s2, v59
	v_add_f16_e32 v63, v63, v64
	v_fma_f16 v55, v62, s6, v55
	v_add_f16_e32 v42, v29, v37
	v_fma_f16 v59, v63, s4, v59
	v_fma_f16 v55, v63, s4, v55
	v_add_f16_e32 v63, v37, v16
	v_add_f16_e32 v42, v42, v76
	v_fma_f16 v29, v63, -0.5, v29
	v_add_f16_e32 v42, v42, v77
	v_fma_f16 v63, v62, s5, v29
	v_sub_f16_e32 v64, v76, v37
	v_sub_f16_e32 v65, v77, v16
	v_fma_f16 v29, v62, s3, v29
	v_add_f16_e32 v62, v14, v15
	v_add_f16_e32 v42, v42, v16
	v_fma_f16 v63, v56, s2, v63
	v_add_f16_e32 v64, v64, v65
	v_fma_f16 v29, v56, s6, v29
	v_fma_f16 v62, v62, -0.5, v1
	v_sub_f16_e32 v16, v37, v16
	v_fma_f16 v63, v64, s4, v63
	v_fma_f16 v29, v64, s4, v29
	;; [unrolled: 1-line block ×3, first 2 shown]
	v_sub_f16_e32 v64, v76, v77
	v_sub_f16_e32 v65, v13, v14
	;; [unrolled: 1-line block ×3, first 2 shown]
	v_fma_f16 v62, v16, s3, v62
	v_fma_f16 v37, v64, s6, v37
	v_add_f16_e32 v65, v65, v66
	v_fma_f16 v62, v64, s2, v62
	v_add_f16_e32 v56, v1, v13
	v_fma_f16 v37, v65, s4, v37
	v_fma_f16 v62, v65, s4, v62
	v_add_f16_e32 v65, v13, v38
	v_add_f16_e32 v56, v56, v14
	v_fma_f16 v1, v65, -0.5, v1
	v_add_f16_e32 v56, v56, v15
	v_fma_f16 v65, v64, s3, v1
	v_sub_f16_e32 v13, v14, v13
	v_sub_f16_e32 v14, v15, v38
	v_fma_f16 v1, v64, s5, v1
	v_add_f16_e32 v15, v44, v39
	v_fma_f16 v65, v16, s6, v65
	v_add_f16_e32 v13, v13, v14
	v_fma_f16 v1, v16, s2, v1
	v_fma_f16 v15, v15, -0.5, v30
	v_sub_f16_e32 v16, v17, v20
	v_add_f16_e32 v56, v56, v38
	v_fma_f16 v14, v13, s4, v65
	v_fma_f16 v38, v16, s3, v15
	v_sub_f16_e32 v64, v18, v19
	v_sub_f16_e32 v65, v61, v44
	;; [unrolled: 1-line block ×3, first 2 shown]
	v_fma_f16 v15, v16, s5, v15
	v_fma_f16 v38, v64, s2, v38
	v_add_f16_e32 v65, v65, v66
	v_fma_f16 v15, v64, s6, v15
	v_fma_f16 v1, v13, s4, v1
	v_add_f16_e32 v13, v30, v61
	;; [unrolled: 3-line block ×3, first 2 shown]
	v_add_f16_e32 v13, v13, v44
	v_fma_f16 v30, v65, -0.5, v30
	v_add_f16_e32 v13, v13, v39
	v_fma_f16 v65, v64, s5, v30
	v_fma_f16 v30, v64, s3, v30
	v_add_f16_e32 v64, v18, v19
	v_add_f16_e32 v13, v13, v46
	v_sub_f16_e32 v66, v44, v61
	v_sub_f16_e32 v67, v39, v46
	v_fma_f16 v64, v64, -0.5, v34
	v_sub_f16_e32 v46, v61, v46
	v_fma_f16 v65, v16, s2, v65
	v_add_f16_e32 v66, v66, v67
	v_fma_f16 v16, v16, s6, v30
	v_fma_f16 v61, v46, s5, v64
	v_sub_f16_e32 v39, v44, v39
	v_fma_f16 v65, v66, s4, v65
	v_fma_f16 v16, v66, s4, v16
	;; [unrolled: 1-line block ×3, first 2 shown]
	v_sub_f16_e32 v61, v17, v18
	v_sub_f16_e32 v66, v20, v19
	v_fma_f16 v64, v46, s3, v64
	v_add_f16_e32 v30, v34, v17
	v_add_f16_e32 v61, v61, v66
	v_fma_f16 v64, v39, s2, v64
	v_add_f16_e32 v30, v30, v18
	v_fma_f16 v44, v61, s4, v44
	v_fma_f16 v61, v61, s4, v64
	v_add_f16_e32 v64, v17, v20
	v_add_f16_e32 v30, v30, v19
	v_fma_f16 v34, v64, -0.5, v34
	v_add_f16_e32 v30, v30, v20
	v_fma_f16 v64, v39, s3, v34
	v_sub_f16_e32 v17, v18, v17
	v_sub_f16_e32 v18, v19, v20
	v_add_f16_e32 v20, v45, v48
	v_fma_f16 v64, v46, s6, v64
	v_add_f16_e32 v17, v17, v18
	v_fma_f16 v19, v39, s5, v34
	v_fma_f16 v20, v20, -0.5, v31
	v_sub_f16_e32 v34, v21, v24
	v_fma_f16 v18, v17, s4, v64
	v_fma_f16 v19, v46, s2, v19
	;; [unrolled: 1-line block ×3, first 2 shown]
	v_sub_f16_e32 v46, v22, v23
	v_sub_f16_e32 v64, v43, v45
	;; [unrolled: 1-line block ×3, first 2 shown]
	v_fma_f16 v20, v34, s5, v20
	v_fma_f16 v39, v46, s2, v39
	v_add_f16_e32 v64, v64, v66
	v_fma_f16 v20, v46, s6, v20
	v_fma_f16 v39, v64, s4, v39
	;; [unrolled: 1-line block ×3, first 2 shown]
	v_add_f16_e32 v64, v43, v47
	v_fma_f16 v17, v17, s4, v19
	v_add_f16_e32 v19, v31, v43
	v_fma_f16 v31, v64, -0.5, v31
	v_add_f16_e32 v19, v19, v45
	v_fma_f16 v64, v46, s5, v31
	v_sub_f16_e32 v66, v45, v43
	v_sub_f16_e32 v67, v48, v47
	v_fma_f16 v31, v46, s3, v31
	v_add_f16_e32 v46, v22, v23
	v_add_f16_e32 v19, v19, v48
	v_fma_f16 v64, v34, s2, v64
	v_add_f16_e32 v66, v66, v67
	v_fma_f16 v31, v34, s6, v31
	v_fma_f16 v46, v46, -0.5, v35
	v_sub_f16_e32 v43, v43, v47
	v_add_f16_e32 v19, v19, v47
	v_fma_f16 v64, v66, s4, v64
	v_fma_f16 v31, v66, s4, v31
	;; [unrolled: 1-line block ×3, first 2 shown]
	v_sub_f16_e32 v45, v45, v48
	v_sub_f16_e32 v48, v21, v22
	;; [unrolled: 1-line block ×3, first 2 shown]
	v_fma_f16 v46, v43, s3, v46
	v_add_f16_e32 v34, v35, v21
	v_fma_f16 v47, v45, s6, v47
	v_add_f16_e32 v48, v48, v66
	;; [unrolled: 2-line block ×3, first 2 shown]
	v_fma_f16 v47, v48, s4, v47
	v_fma_f16 v46, v48, s4, v46
	v_add_f16_e32 v48, v21, v24
	v_add_f16_e32 v34, v34, v23
	v_fma_f16 v35, v48, -0.5, v35
	v_add_f16_e32 v34, v34, v24
	v_fma_f16 v48, v45, s3, v35
	v_sub_f16_e32 v21, v22, v21
	v_sub_f16_e32 v22, v23, v24
	v_add_f16_e32 v24, v52, v49
	v_fma_f16 v48, v43, s6, v48
	v_add_f16_e32 v21, v21, v22
	v_fma_f16 v23, v45, s5, v35
	v_fma_f16 v24, v24, -0.5, v32
	v_sub_f16_e32 v35, v25, v28
	v_fma_f16 v22, v21, s4, v48
	v_fma_f16 v23, v43, s2, v23
	;; [unrolled: 1-line block ×3, first 2 shown]
	v_sub_f16_e32 v45, v26, v27
	v_sub_f16_e32 v48, v50, v52
	;; [unrolled: 1-line block ×3, first 2 shown]
	v_fma_f16 v24, v35, s5, v24
	v_fma_f16 v43, v45, s2, v43
	v_add_f16_e32 v48, v48, v66
	v_fma_f16 v24, v45, s6, v24
	v_fma_f16 v43, v48, s4, v43
	;; [unrolled: 1-line block ×3, first 2 shown]
	v_add_f16_e32 v48, v50, v54
	v_fma_f16 v21, v21, s4, v23
	v_add_f16_e32 v23, v32, v50
	v_fma_f16 v32, v48, -0.5, v32
	v_add_f16_e32 v23, v23, v52
	v_fma_f16 v48, v45, s5, v32
	v_fma_f16 v32, v45, s3, v32
	v_add_f16_e32 v45, v26, v27
	v_add_f16_e32 v23, v23, v49
	v_sub_f16_e32 v66, v52, v50
	v_sub_f16_e32 v67, v49, v54
	v_fma_f16 v45, v45, -0.5, v60
	v_sub_f16_e32 v50, v50, v54
	v_add_f16_e32 v23, v23, v54
	v_fma_f16 v48, v35, s2, v48
	v_add_f16_e32 v66, v66, v67
	v_fma_f16 v32, v35, s6, v32
	v_fma_f16 v54, v50, s5, v45
	v_sub_f16_e32 v49, v52, v49
	v_fma_f16 v48, v66, s4, v48
	v_fma_f16 v32, v66, s4, v32
	;; [unrolled: 1-line block ×3, first 2 shown]
	v_sub_f16_e32 v54, v25, v26
	v_sub_f16_e32 v66, v28, v27
	v_fma_f16 v45, v50, s3, v45
	v_add_f16_e32 v35, v60, v25
	v_add_f16_e32 v54, v54, v66
	v_fma_f16 v45, v49, s2, v45
	v_add_f16_e32 v35, v35, v26
	v_fma_f16 v52, v54, s4, v52
	v_fma_f16 v45, v54, s4, v45
	v_add_f16_e32 v54, v25, v28
	v_add_f16_e32 v35, v35, v27
	v_fma_f16 v54, v54, -0.5, v60
	v_add_f16_e32 v35, v35, v28
	v_fma_f16 v60, v49, s3, v54
	v_sub_f16_e32 v25, v26, v25
	v_sub_f16_e32 v26, v27, v28
	v_add_f16_e32 v28, v53, v40
	v_fma_f16 v60, v50, s6, v60
	v_add_f16_e32 v25, v25, v26
	v_fma_f16 v27, v49, s5, v54
	v_fma_f16 v28, v28, -0.5, v36
	v_sub_f16_e32 v49, v9, v12
	v_fma_f16 v26, v25, s4, v60
	v_fma_f16 v27, v50, s2, v27
	;; [unrolled: 1-line block ×3, first 2 shown]
	v_sub_f16_e32 v54, v10, v11
	v_sub_f16_e32 v60, v51, v53
	;; [unrolled: 1-line block ×3, first 2 shown]
	v_fma_f16 v28, v49, s5, v28
	v_fma_f16 v50, v54, s2, v50
	v_add_f16_e32 v60, v60, v66
	v_fma_f16 v28, v54, s6, v28
	v_fma_f16 v25, v25, s4, v27
	v_add_f16_e32 v27, v36, v51
	;; [unrolled: 3-line block ×3, first 2 shown]
	v_add_f16_e32 v27, v27, v53
	v_fma_f16 v36, v60, -0.5, v36
	v_add_f16_e32 v27, v27, v40
	v_fma_f16 v60, v54, s5, v36
	v_sub_f16_e32 v66, v53, v51
	v_sub_f16_e32 v67, v40, v41
	v_fma_f16 v36, v54, s3, v36
	v_add_f16_e32 v54, v10, v11
	v_add_f16_e32 v27, v27, v41
	v_fma_f16 v60, v49, s2, v60
	v_add_f16_e32 v66, v66, v67
	v_fma_f16 v36, v49, s6, v36
	v_fma_f16 v54, v54, -0.5, v73
	v_sub_f16_e32 v41, v51, v41
	v_fma_f16 v60, v66, s4, v60
	v_fma_f16 v36, v66, s4, v36
	;; [unrolled: 1-line block ×3, first 2 shown]
	v_sub_f16_e32 v40, v53, v40
	v_sub_f16_e32 v53, v9, v10
	;; [unrolled: 1-line block ×3, first 2 shown]
	v_fma_f16 v54, v41, s3, v54
	v_fma_f16 v51, v40, s6, v51
	v_add_f16_e32 v53, v53, v66
	v_fma_f16 v54, v40, s2, v54
	v_add_f16_e32 v49, v73, v9
	v_fma_f16 v51, v53, s4, v51
	v_fma_f16 v53, v53, s4, v54
	v_add_f16_e32 v54, v9, v12
	v_add_f16_e32 v49, v49, v10
	v_fma_f16 v54, v54, -0.5, v73
	v_add_f16_e32 v49, v49, v11
	v_fma_f16 v66, v40, s3, v54
	v_sub_f16_e32 v9, v10, v9
	v_sub_f16_e32 v10, v11, v12
	v_fma_f16 v11, v40, s5, v54
	v_fma_f16 v66, v41, s6, v66
	v_add_f16_e32 v9, v9, v10
	v_fma_f16 v11, v41, s2, v11
	v_fma_f16 v10, v9, s4, v66
	;; [unrolled: 1-line block ×3, first 2 shown]
	v_pack_b32_f16 v11, v42, v56
	v_pack_b32_f16 v13, v13, v30
	;; [unrolled: 1-line block ×3, first 2 shown]
	ds_write2_b32 v33, v11, v13 offset1:56
	v_pack_b32_f16 v13, v65, v18
	v_pack_b32_f16 v11, v38, v44
	ds_write2_b32 v5, v14, v13 offset0:48 offset1:104
	v_pack_b32_f16 v14, v15, v61
	v_pack_b32_f16 v15, v39, v47
	;; [unrolled: 1-line block ×5, first 2 shown]
	ds_write2_b32 v8, v11, v15 offset0:80 offset1:136
	v_pack_b32_f16 v15, v31, v21
	ds_write2_b32 v57, v29, v14 offset0:96 offset1:152
	v_pack_b32_f16 v14, v19, v34
	;; [unrolled: 2-line block ×3, first 2 shown]
	v_pack_b32_f16 v11, v64, v22
	ds_write2_b32 v33, v14, v15 offset0:112 offset1:168
	v_pack_b32_f16 v15, v48, v26
	v_add_f16_e32 v49, v49, v12
	v_pack_b32_f16 v13, v20, v46
	ds_write2_b32 v5, v11, v15 offset0:160 offset1:216
	v_pack_b32_f16 v11, v24, v45
	v_pack_b32_f16 v12, v59, v37
	ds_write2_b32 v58, v13, v11 offset0:80 offset1:136
	v_pack_b32_f16 v11, v27, v49
	;; [unrolled: 3-line block ×3, first 2 shown]
	ds_write2_b32 v8, v14, v4 offset0:192 offset1:248
	v_pack_b32_f16 v4, v60, v10
	v_pack_b32_f16 v5, v32, v25
	ds_write2_b32 v6, v4, v1 offset0:16 offset1:72
	v_pack_b32_f16 v1, v36, v9
	ds_write2_b32 v7, v5, v1 offset0:112 offset1:168
	v_pack_b32_f16 v1, v28, v53
	ds_write_b32 v33, v1 offset:5376
	s_waitcnt lgkmcnt(0)
	; wave barrier
	s_waitcnt lgkmcnt(0)
	s_and_saveexec_b64 s[2:3], s[0:1]
	s_cbranch_execz .LBB0_35
; %bb.34:
	v_lshl_add_u32 v6, v0, 2, 0
	v_mov_b32_e32 v1, 0
	ds_read2_b32 v[4:5], v6 offset1:56
	v_mov_b32_e32 v7, s13
	v_add_co_u32_e32 v8, vcc, s12, v2
	v_addc_co_u32_e32 v7, vcc, v7, v3, vcc
	v_lshlrev_b64 v[2:3], 2, v[0:1]
	v_add_u32_e32 v9, 0x400, v6
	v_add_co_u32_e32 v2, vcc, v8, v2
	v_addc_co_u32_e32 v3, vcc, v7, v3, vcc
	s_waitcnt lgkmcnt(0)
	global_store_dword v[2:3], v4, off
	v_add_u32_e32 v2, 56, v0
	v_mov_b32_e32 v3, v1
	v_lshlrev_b64 v[2:3], 2, v[2:3]
	v_add_co_u32_e32 v2, vcc, v8, v2
	v_addc_co_u32_e32 v3, vcc, v7, v3, vcc
	global_store_dword v[2:3], v5, off
	v_add_u32_e32 v2, 0x70, v0
	v_mov_b32_e32 v3, v1
	ds_read2_b32 v[4:5], v6 offset0:112 offset1:168
	v_lshlrev_b64 v[2:3], 2, v[2:3]
	v_add_co_u32_e32 v2, vcc, v8, v2
	v_addc_co_u32_e32 v3, vcc, v7, v3, vcc
	s_waitcnt lgkmcnt(0)
	global_store_dword v[2:3], v4, off
	v_add_u32_e32 v2, 0xa8, v0
	v_mov_b32_e32 v3, v1
	v_lshlrev_b64 v[2:3], 2, v[2:3]
	v_add_u32_e32 v4, 0x200, v6
	v_add_co_u32_e32 v2, vcc, v8, v2
	v_addc_co_u32_e32 v3, vcc, v7, v3, vcc
	global_store_dword v[2:3], v5, off
	v_add_u32_e32 v2, 0xe0, v0
	v_mov_b32_e32 v3, v1
	ds_read2_b32 v[4:5], v4 offset0:96 offset1:152
	v_lshlrev_b64 v[2:3], 2, v[2:3]
	v_add_co_u32_e32 v2, vcc, v8, v2
	v_addc_co_u32_e32 v3, vcc, v7, v3, vcc
	s_waitcnt lgkmcnt(0)
	global_store_dword v[2:3], v4, off
	v_add_u32_e32 v2, 0x118, v0
	v_mov_b32_e32 v3, v1
	v_lshlrev_b64 v[2:3], 2, v[2:3]
	v_add_co_u32_e32 v2, vcc, v8, v2
	v_addc_co_u32_e32 v3, vcc, v7, v3, vcc
	global_store_dword v[2:3], v5, off
	v_add_u32_e32 v2, 0x150, v0
	v_mov_b32_e32 v3, v1
	ds_read2_b32 v[4:5], v9 offset0:80 offset1:136
	v_lshlrev_b64 v[2:3], 2, v[2:3]
	v_add_co_u32_e32 v2, vcc, v8, v2
	v_addc_co_u32_e32 v3, vcc, v7, v3, vcc
	s_waitcnt lgkmcnt(0)
	global_store_dword v[2:3], v4, off
	v_add_u32_e32 v2, 0x188, v0
	v_mov_b32_e32 v3, v1
	v_lshlrev_b64 v[2:3], 2, v[2:3]
	v_add_co_u32_e32 v2, vcc, v8, v2
	v_addc_co_u32_e32 v3, vcc, v7, v3, vcc
	global_store_dword v[2:3], v5, off
	v_add_u32_e32 v2, 0x1c0, v0
	v_mov_b32_e32 v3, v1
	ds_read2_b32 v[4:5], v9 offset0:192 offset1:248
	v_lshlrev_b64 v[2:3], 2, v[2:3]
	v_add_u32_e32 v9, 0x800, v6
	v_add_co_u32_e32 v2, vcc, v8, v2
	v_addc_co_u32_e32 v3, vcc, v7, v3, vcc
	s_waitcnt lgkmcnt(0)
	global_store_dword v[2:3], v4, off
	v_add_u32_e32 v2, 0x1f8, v0
	v_mov_b32_e32 v3, v1
	v_lshlrev_b64 v[2:3], 2, v[2:3]
	v_add_co_u32_e32 v2, vcc, v8, v2
	v_addc_co_u32_e32 v3, vcc, v7, v3, vcc
	global_store_dword v[2:3], v5, off
	v_add_u32_e32 v2, 0x230, v0
	v_mov_b32_e32 v3, v1
	ds_read2_b32 v[4:5], v9 offset0:48 offset1:104
	v_lshlrev_b64 v[2:3], 2, v[2:3]
	v_add_co_u32_e32 v2, vcc, v8, v2
	v_addc_co_u32_e32 v3, vcc, v7, v3, vcc
	s_waitcnt lgkmcnt(0)
	global_store_dword v[2:3], v4, off
	v_add_u32_e32 v2, 0x268, v0
	v_mov_b32_e32 v3, v1
	v_lshlrev_b64 v[2:3], 2, v[2:3]
	v_add_co_u32_e32 v2, vcc, v8, v2
	v_addc_co_u32_e32 v3, vcc, v7, v3, vcc
	global_store_dword v[2:3], v5, off
	v_add_u32_e32 v2, 0x2a0, v0
	v_mov_b32_e32 v3, v1
	ds_read2_b32 v[4:5], v9 offset0:160 offset1:216
	v_lshlrev_b64 v[2:3], 2, v[2:3]
	v_add_u32_e32 v9, 0xc00, v6
	v_add_co_u32_e32 v2, vcc, v8, v2
	v_addc_co_u32_e32 v3, vcc, v7, v3, vcc
	s_waitcnt lgkmcnt(0)
	global_store_dword v[2:3], v4, off
	v_add_u32_e32 v2, 0x2d8, v0
	v_mov_b32_e32 v3, v1
	v_lshlrev_b64 v[2:3], 2, v[2:3]
	v_add_co_u32_e32 v2, vcc, v8, v2
	v_addc_co_u32_e32 v3, vcc, v7, v3, vcc
	global_store_dword v[2:3], v5, off
	v_add_u32_e32 v2, 0x310, v0
	v_mov_b32_e32 v3, v1
	ds_read2_b32 v[4:5], v9 offset0:16 offset1:72
	v_lshlrev_b64 v[2:3], 2, v[2:3]
	v_add_co_u32_e32 v2, vcc, v8, v2
	v_addc_co_u32_e32 v3, vcc, v7, v3, vcc
	s_waitcnt lgkmcnt(0)
	global_store_dword v[2:3], v4, off
	v_add_u32_e32 v2, 0x348, v0
	v_mov_b32_e32 v3, v1
	v_lshlrev_b64 v[2:3], 2, v[2:3]
	v_add_co_u32_e32 v2, vcc, v8, v2
	v_addc_co_u32_e32 v3, vcc, v7, v3, vcc
	global_store_dword v[2:3], v5, off
	v_add_u32_e32 v2, 0x380, v0
	v_mov_b32_e32 v3, v1
	ds_read2_b32 v[4:5], v9 offset0:128 offset1:184
	v_lshlrev_b64 v[2:3], 2, v[2:3]
	v_add_co_u32_e32 v2, vcc, v8, v2
	v_addc_co_u32_e32 v3, vcc, v7, v3, vcc
	s_waitcnt lgkmcnt(0)
	global_store_dword v[2:3], v4, off
	v_add_u32_e32 v2, 0x3b8, v0
	v_mov_b32_e32 v3, v1
	v_lshlrev_b64 v[2:3], 2, v[2:3]
	v_add_u32_e32 v4, 0xe00, v6
	v_add_co_u32_e32 v2, vcc, v8, v2
	v_addc_co_u32_e32 v3, vcc, v7, v3, vcc
	global_store_dword v[2:3], v5, off
	v_add_u32_e32 v2, 0x3f0, v0
	v_mov_b32_e32 v3, v1
	ds_read2_b32 v[4:5], v4 offset0:112 offset1:168
	v_lshlrev_b64 v[2:3], 2, v[2:3]
	v_add_co_u32_e32 v2, vcc, v8, v2
	v_addc_co_u32_e32 v3, vcc, v7, v3, vcc
	s_waitcnt lgkmcnt(0)
	global_store_dword v[2:3], v4, off
	v_add_u32_e32 v2, 0x428, v0
	v_mov_b32_e32 v3, v1
	v_lshlrev_b64 v[2:3], 2, v[2:3]
	v_add_u32_e32 v4, 0x1000, v6
	v_add_co_u32_e32 v2, vcc, v8, v2
	v_addc_co_u32_e32 v3, vcc, v7, v3, vcc
	global_store_dword v[2:3], v5, off
	v_add_u32_e32 v2, 0x460, v0
	v_mov_b32_e32 v3, v1
	ds_read2_b32 v[4:5], v4 offset0:96 offset1:152
	v_lshlrev_b64 v[2:3], 2, v[2:3]
	v_add_co_u32_e32 v2, vcc, v8, v2
	v_addc_co_u32_e32 v3, vcc, v7, v3, vcc
	s_waitcnt lgkmcnt(0)
	global_store_dword v[2:3], v4, off
	v_add_u32_e32 v2, 0x498, v0
	v_mov_b32_e32 v3, v1
	v_lshlrev_b64 v[2:3], 2, v[2:3]
	v_add_u32_e32 v4, 0x1200, v6
	v_add_co_u32_e32 v2, vcc, v8, v2
	v_addc_co_u32_e32 v3, vcc, v7, v3, vcc
	global_store_dword v[2:3], v5, off
	v_add_u32_e32 v2, 0x4d0, v0
	v_mov_b32_e32 v3, v1
	ds_read2_b32 v[4:5], v4 offset0:80 offset1:136
	v_lshlrev_b64 v[2:3], 2, v[2:3]
	v_add_co_u32_e32 v2, vcc, v8, v2
	v_addc_co_u32_e32 v3, vcc, v7, v3, vcc
	s_waitcnt lgkmcnt(0)
	global_store_dword v[2:3], v4, off
	v_add_u32_e32 v2, 0x508, v0
	v_mov_b32_e32 v3, v1
	v_lshlrev_b64 v[2:3], 2, v[2:3]
	v_add_u32_e32 v0, 0x540, v0
	v_add_co_u32_e32 v2, vcc, v8, v2
	v_addc_co_u32_e32 v3, vcc, v7, v3, vcc
	global_store_dword v[2:3], v5, off
	ds_read_b32 v2, v6 offset:5376
	v_lshlrev_b64 v[0:1], 2, v[0:1]
	v_add_co_u32_e32 v0, vcc, v8, v0
	v_addc_co_u32_e32 v1, vcc, v7, v1, vcc
	s_waitcnt lgkmcnt(0)
	global_store_dword v[0:1], v2, off
.LBB0_35:
	s_endpgm
	.section	.rodata,"a",@progbits
	.p2align	6, 0x0
	.amdhsa_kernel fft_rtc_fwd_len1400_factors_2_2_2_5_7_5_wgs_56_tpt_56_halfLds_half_ip_CI_unitstride_sbrr_C2R_dirReg
		.amdhsa_group_segment_fixed_size 0
		.amdhsa_private_segment_fixed_size 0
		.amdhsa_kernarg_size 88
		.amdhsa_user_sgpr_count 6
		.amdhsa_user_sgpr_private_segment_buffer 1
		.amdhsa_user_sgpr_dispatch_ptr 0
		.amdhsa_user_sgpr_queue_ptr 0
		.amdhsa_user_sgpr_kernarg_segment_ptr 1
		.amdhsa_user_sgpr_dispatch_id 0
		.amdhsa_user_sgpr_flat_scratch_init 0
		.amdhsa_user_sgpr_private_segment_size 0
		.amdhsa_uses_dynamic_stack 0
		.amdhsa_system_sgpr_private_segment_wavefront_offset 0
		.amdhsa_system_sgpr_workgroup_id_x 1
		.amdhsa_system_sgpr_workgroup_id_y 0
		.amdhsa_system_sgpr_workgroup_id_z 0
		.amdhsa_system_sgpr_workgroup_info 0
		.amdhsa_system_vgpr_workitem_id 0
		.amdhsa_next_free_vgpr 83
		.amdhsa_next_free_sgpr 22
		.amdhsa_reserve_vcc 1
		.amdhsa_reserve_flat_scratch 0
		.amdhsa_float_round_mode_32 0
		.amdhsa_float_round_mode_16_64 0
		.amdhsa_float_denorm_mode_32 3
		.amdhsa_float_denorm_mode_16_64 3
		.amdhsa_dx10_clamp 1
		.amdhsa_ieee_mode 1
		.amdhsa_fp16_overflow 0
		.amdhsa_exception_fp_ieee_invalid_op 0
		.amdhsa_exception_fp_denorm_src 0
		.amdhsa_exception_fp_ieee_div_zero 0
		.amdhsa_exception_fp_ieee_overflow 0
		.amdhsa_exception_fp_ieee_underflow 0
		.amdhsa_exception_fp_ieee_inexact 0
		.amdhsa_exception_int_div_zero 0
	.end_amdhsa_kernel
	.text
.Lfunc_end0:
	.size	fft_rtc_fwd_len1400_factors_2_2_2_5_7_5_wgs_56_tpt_56_halfLds_half_ip_CI_unitstride_sbrr_C2R_dirReg, .Lfunc_end0-fft_rtc_fwd_len1400_factors_2_2_2_5_7_5_wgs_56_tpt_56_halfLds_half_ip_CI_unitstride_sbrr_C2R_dirReg
                                        ; -- End function
	.section	.AMDGPU.csdata,"",@progbits
; Kernel info:
; codeLenInByte = 18056
; NumSgprs: 26
; NumVgprs: 83
; ScratchSize: 0
; MemoryBound: 0
; FloatMode: 240
; IeeeMode: 1
; LDSByteSize: 0 bytes/workgroup (compile time only)
; SGPRBlocks: 3
; VGPRBlocks: 20
; NumSGPRsForWavesPerEU: 26
; NumVGPRsForWavesPerEU: 83
; Occupancy: 3
; WaveLimiterHint : 1
; COMPUTE_PGM_RSRC2:SCRATCH_EN: 0
; COMPUTE_PGM_RSRC2:USER_SGPR: 6
; COMPUTE_PGM_RSRC2:TRAP_HANDLER: 0
; COMPUTE_PGM_RSRC2:TGID_X_EN: 1
; COMPUTE_PGM_RSRC2:TGID_Y_EN: 0
; COMPUTE_PGM_RSRC2:TGID_Z_EN: 0
; COMPUTE_PGM_RSRC2:TIDIG_COMP_CNT: 0
	.type	__hip_cuid_967621a3ca47fac3,@object ; @__hip_cuid_967621a3ca47fac3
	.section	.bss,"aw",@nobits
	.globl	__hip_cuid_967621a3ca47fac3
__hip_cuid_967621a3ca47fac3:
	.byte	0                               ; 0x0
	.size	__hip_cuid_967621a3ca47fac3, 1

	.ident	"AMD clang version 19.0.0git (https://github.com/RadeonOpenCompute/llvm-project roc-6.4.0 25133 c7fe45cf4b819c5991fe208aaa96edf142730f1d)"
	.section	".note.GNU-stack","",@progbits
	.addrsig
	.addrsig_sym __hip_cuid_967621a3ca47fac3
	.amdgpu_metadata
---
amdhsa.kernels:
  - .args:
      - .actual_access:  read_only
        .address_space:  global
        .offset:         0
        .size:           8
        .value_kind:     global_buffer
      - .offset:         8
        .size:           8
        .value_kind:     by_value
      - .actual_access:  read_only
        .address_space:  global
        .offset:         16
        .size:           8
        .value_kind:     global_buffer
      - .actual_access:  read_only
        .address_space:  global
        .offset:         24
        .size:           8
        .value_kind:     global_buffer
      - .offset:         32
        .size:           8
        .value_kind:     by_value
      - .actual_access:  read_only
        .address_space:  global
        .offset:         40
        .size:           8
        .value_kind:     global_buffer
      - .actual_access:  read_only
        .address_space:  global
        .offset:         48
        .size:           8
        .value_kind:     global_buffer
      - .offset:         56
        .size:           4
        .value_kind:     by_value
      - .actual_access:  read_only
        .address_space:  global
        .offset:         64
        .size:           8
        .value_kind:     global_buffer
      - .actual_access:  read_only
        .address_space:  global
        .offset:         72
        .size:           8
        .value_kind:     global_buffer
      - .address_space:  global
        .offset:         80
        .size:           8
        .value_kind:     global_buffer
    .group_segment_fixed_size: 0
    .kernarg_segment_align: 8
    .kernarg_segment_size: 88
    .language:       OpenCL C
    .language_version:
      - 2
      - 0
    .max_flat_workgroup_size: 56
    .name:           fft_rtc_fwd_len1400_factors_2_2_2_5_7_5_wgs_56_tpt_56_halfLds_half_ip_CI_unitstride_sbrr_C2R_dirReg
    .private_segment_fixed_size: 0
    .sgpr_count:     26
    .sgpr_spill_count: 0
    .symbol:         fft_rtc_fwd_len1400_factors_2_2_2_5_7_5_wgs_56_tpt_56_halfLds_half_ip_CI_unitstride_sbrr_C2R_dirReg.kd
    .uniform_work_group_size: 1
    .uses_dynamic_stack: false
    .vgpr_count:     83
    .vgpr_spill_count: 0
    .wavefront_size: 64
amdhsa.target:   amdgcn-amd-amdhsa--gfx906
amdhsa.version:
  - 1
  - 2
...

	.end_amdgpu_metadata
